;; amdgpu-corpus repo=ROCm/rocFFT kind=compiled arch=gfx1030 opt=O3
	.text
	.amdgcn_target "amdgcn-amd-amdhsa--gfx1030"
	.amdhsa_code_object_version 6
	.protected	fft_rtc_back_len289_factors_17_17_wgs_119_tpt_17_dp_op_CI_CI_sbcc_twdbase8_2step_dirReg ; -- Begin function fft_rtc_back_len289_factors_17_17_wgs_119_tpt_17_dp_op_CI_CI_sbcc_twdbase8_2step_dirReg
	.globl	fft_rtc_back_len289_factors_17_17_wgs_119_tpt_17_dp_op_CI_CI_sbcc_twdbase8_2step_dirReg
	.p2align	8
	.type	fft_rtc_back_len289_factors_17_17_wgs_119_tpt_17_dp_op_CI_CI_sbcc_twdbase8_2step_dirReg,@function
fft_rtc_back_len289_factors_17_17_wgs_119_tpt_17_dp_op_CI_CI_sbcc_twdbase8_2step_dirReg: ; @fft_rtc_back_len289_factors_17_17_wgs_119_tpt_17_dp_op_CI_CI_sbcc_twdbase8_2step_dirReg
; %bb.0:
	s_clause 0x1
	s_load_dwordx4 s[20:23], s[4:5], 0x18
	s_load_dwordx2 s[30:31], s[4:5], 0x28
	s_mov_b64 s[70:71], s[2:3]
	s_mov_b64 s[68:69], s[0:1]
	v_mov_b32_e32 v2, v0
	s_add_u32 s68, s68, s7
	s_addc_u32 s69, s69, 0
	s_mov_b64 s[24:25], 0
	s_waitcnt lgkmcnt(0)
	s_load_dwordx2 s[28:29], s[20:21], 0x8
	s_waitcnt lgkmcnt(0)
	s_add_u32 s0, s28, -1
	s_addc_u32 s1, s29, -1
	s_add_u32 s2, 0, 0x92481000
	s_addc_u32 s3, 0, 0x64
	s_mul_hi_u32 s8, s2, -7
	s_add_i32 s3, s3, 0x249248c0
	s_sub_i32 s8, s8, s2
	s_mul_i32 s10, s3, -7
	s_mul_i32 s7, s2, -7
	s_add_i32 s8, s8, s10
	s_mul_hi_u32 s9, s2, s7
	s_mul_i32 s12, s2, s8
	s_mul_hi_u32 s10, s2, s8
	s_mul_hi_u32 s11, s3, s7
	s_mul_i32 s7, s3, s7
	s_add_u32 s9, s9, s12
	s_addc_u32 s10, 0, s10
	s_mul_hi_u32 s13, s3, s8
	s_add_u32 s7, s9, s7
	s_mul_i32 s8, s3, s8
	s_addc_u32 s7, s10, s11
	s_addc_u32 s9, s13, 0
	s_add_u32 s7, s7, s8
	v_add_co_u32 v0, s2, s2, s7
	s_addc_u32 s7, 0, s9
	s_cmp_lg_u32 s2, 0
	s_addc_u32 s2, s3, s7
	v_readfirstlane_b32 s3, v0
	s_mul_i32 s8, s0, s2
	s_mul_hi_u32 s7, s0, s2
	s_mul_hi_u32 s9, s1, s2
	s_mul_i32 s2, s1, s2
	s_mul_hi_u32 s10, s0, s3
	s_mul_hi_u32 s11, s1, s3
	s_mul_i32 s3, s1, s3
	s_add_u32 s8, s10, s8
	s_addc_u32 s7, 0, s7
	s_add_u32 s3, s8, s3
	s_addc_u32 s3, s7, s11
	s_addc_u32 s7, s9, 0
	s_add_u32 s2, s3, s2
	s_addc_u32 s3, 0, s7
	s_mul_i32 s8, s2, 7
	s_add_u32 s7, s2, 1
	v_sub_co_u32 v0, s0, s0, s8
	s_mul_hi_u32 s8, s2, 7
	s_addc_u32 s9, s3, 0
	s_mul_i32 s10, s3, 7
	v_sub_co_u32 v1, s11, v0, 7
	s_add_u32 s12, s2, 2
	s_addc_u32 s13, s3, 0
	s_add_i32 s8, s8, s10
	s_cmp_lg_u32 s0, 0
	v_readfirstlane_b32 s0, v1
	s_subb_u32 s1, s1, s8
	s_cmp_lg_u32 s11, 0
	s_subb_u32 s8, s1, 0
	s_cmp_gt_u32 s0, 6
	s_cselect_b32 s0, -1, 0
	s_cmp_eq_u32 s8, 0
	v_readfirstlane_b32 s8, v0
	s_cselect_b32 s0, s0, -1
	s_cmp_lg_u32 s0, 0
	s_cselect_b32 s0, s12, s7
	s_cselect_b32 s9, s13, s9
	s_cmp_gt_u32 s8, 6
	s_cselect_b32 s7, -1, 0
	s_cmp_eq_u32 s1, 0
	s_cselect_b32 s1, s7, -1
	s_mov_b32 s7, 0
	s_cmp_lg_u32 s1, 0
	s_cselect_b32 s0, s0, s2
	s_cselect_b32 s1, s9, s3
	s_add_u32 s36, s0, 1
	s_addc_u32 s37, s1, 0
	v_cmp_lt_u64_e64 s0, s[6:7], s[36:37]
	s_and_b32 vcc_lo, exec_lo, s0
	s_cbranch_vccnz .LBB0_2
; %bb.1:
	v_cvt_f32_u32_e32 v0, s36
	s_sub_i32 s1, 0, s36
	s_mov_b32 s25, s7
	v_rcp_iflag_f32_e32 v0, v0
	v_mul_f32_e32 v0, 0x4f7ffffe, v0
	v_cvt_u32_f32_e32 v0, v0
	v_readfirstlane_b32 s0, v0
	s_mul_i32 s1, s1, s0
	s_mul_hi_u32 s1, s0, s1
	s_add_i32 s0, s0, s1
	s_mul_hi_u32 s0, s6, s0
	s_mul_i32 s1, s0, s36
	s_add_i32 s2, s0, 1
	s_sub_i32 s1, s6, s1
	s_sub_i32 s3, s1, s36
	s_cmp_ge_u32 s1, s36
	s_cselect_b32 s0, s2, s0
	s_cselect_b32 s1, s3, s1
	s_add_i32 s2, s0, 1
	s_cmp_ge_u32 s1, s36
	s_cselect_b32 s24, s2, s0
.LBB0_2:
	s_load_dwordx4 s[16:19], s[22:23], 0x0
	s_load_dwordx4 s[0:3], s[30:31], 0x0
	s_clause 0x1
	s_load_dwordx4 s[12:15], s[4:5], 0x8
	s_load_dwordx2 s[26:27], s[4:5], 0x0
	s_mul_i32 s8, s24, s37
	s_mul_hi_u32 s9, s24, s36
	s_mul_i32 s10, s24, s36
	s_add_i32 s9, s9, s8
	s_sub_u32 s50, s6, s10
	s_subb_u32 s8, 0, s9
	s_mul_hi_u32 s33, s50, 7
	s_mul_i32 s34, s8, 7
	s_load_dwordx4 s[8:11], s[4:5], 0x60
	s_add_i32 s33, s33, s34
	s_mul_i32 s50, s50, 7
	s_waitcnt lgkmcnt(0)
	s_mul_i32 s4, s18, s33
	s_mul_hi_u32 s5, s18, s50
	v_cmp_lt_u64_e64 s40, s[14:15], 3
	s_mul_i32 s35, s2, s33
	s_mul_hi_u32 s38, s2, s50
	s_mul_i32 s34, s19, s50
	s_mul_i32 s39, s3, s50
	s_add_i32 s4, s5, s4
	s_add_i32 s5, s38, s35
	;; [unrolled: 1-line block ×3, first 2 shown]
	s_mul_i32 s34, s18, s50
	s_add_i32 s5, s5, s39
	s_and_b32 vcc_lo, exec_lo, s40
	s_mul_i32 s4, s2, s50
	s_cbranch_vccnz .LBB0_12
; %bb.3:
	s_add_u32 s38, s30, 16
	s_addc_u32 s39, s31, 0
	s_add_u32 s40, s22, 16
	s_addc_u32 s41, s23, 0
	;; [unrolled: 2-line block ×3, first 2 shown]
	s_mov_b64 s[42:43], 2
	s_mov_b32 s44, 0
.LBB0_4:                                ; =>This Inner Loop Header: Depth=1
	s_load_dwordx2 s[46:47], s[20:21], 0x0
	s_waitcnt lgkmcnt(0)
	s_or_b64 s[48:49], s[24:25], s[46:47]
	s_mov_b32 s45, s49
                                        ; implicit-def: $sgpr48_sgpr49
	s_cmp_lg_u64 s[44:45], 0
	s_mov_b32 s45, -1
	s_cbranch_scc0 .LBB0_6
; %bb.5:                                ;   in Loop: Header=BB0_4 Depth=1
	v_cvt_f32_u32_e32 v0, s46
	v_cvt_f32_u32_e32 v1, s47
	s_sub_u32 s49, 0, s46
	s_subb_u32 s51, 0, s47
	v_fmac_f32_e32 v0, 0x4f800000, v1
	v_rcp_f32_e32 v0, v0
	v_mul_f32_e32 v0, 0x5f7ffffc, v0
	v_mul_f32_e32 v1, 0x2f800000, v0
	v_trunc_f32_e32 v1, v1
	v_fmac_f32_e32 v0, 0xcf800000, v1
	v_cvt_u32_f32_e32 v1, v1
	v_cvt_u32_f32_e32 v0, v0
	v_readfirstlane_b32 s45, v1
	v_readfirstlane_b32 s48, v0
	s_mul_i32 s52, s49, s45
	s_mul_hi_u32 s54, s49, s48
	s_mul_i32 s53, s51, s48
	s_add_i32 s52, s54, s52
	s_mul_i32 s55, s49, s48
	s_add_i32 s52, s52, s53
	s_mul_hi_u32 s54, s48, s55
	s_mul_hi_u32 s56, s45, s55
	s_mul_i32 s53, s45, s55
	s_mul_hi_u32 s55, s48, s52
	s_mul_i32 s48, s48, s52
	s_mul_hi_u32 s57, s45, s52
	s_add_u32 s48, s54, s48
	s_addc_u32 s54, 0, s55
	s_add_u32 s48, s48, s53
	s_mul_i32 s52, s45, s52
	s_addc_u32 s48, s54, s56
	s_addc_u32 s53, s57, 0
	s_add_u32 s48, s48, s52
	s_addc_u32 s52, 0, s53
	v_add_co_u32 v0, s48, v0, s48
	s_cmp_lg_u32 s48, 0
	s_addc_u32 s45, s45, s52
	v_readfirstlane_b32 s48, v0
	s_mul_i32 s52, s49, s45
	s_mul_hi_u32 s53, s49, s48
	s_mul_i32 s51, s51, s48
	s_add_i32 s52, s53, s52
	s_mul_i32 s49, s49, s48
	s_add_i32 s52, s52, s51
	s_mul_hi_u32 s53, s45, s49
	s_mul_i32 s54, s45, s49
	s_mul_hi_u32 s49, s48, s49
	s_mul_hi_u32 s55, s48, s52
	s_mul_i32 s48, s48, s52
	s_mul_hi_u32 s51, s45, s52
	s_add_u32 s48, s49, s48
	s_addc_u32 s49, 0, s55
	s_add_u32 s48, s48, s54
	s_mul_i32 s52, s45, s52
	s_addc_u32 s48, s49, s53
	s_addc_u32 s49, s51, 0
	s_add_u32 s48, s48, s52
	s_addc_u32 s49, 0, s49
	v_add_co_u32 v0, s48, v0, s48
	s_cmp_lg_u32 s48, 0
	s_addc_u32 s45, s45, s49
	v_readfirstlane_b32 s48, v0
	s_mul_i32 s51, s24, s45
	s_mul_hi_u32 s49, s24, s45
	s_mul_hi_u32 s52, s25, s45
	s_mul_i32 s45, s25, s45
	s_mul_hi_u32 s53, s24, s48
	s_mul_hi_u32 s54, s25, s48
	s_mul_i32 s48, s25, s48
	s_add_u32 s51, s53, s51
	s_addc_u32 s49, 0, s49
	s_add_u32 s48, s51, s48
	s_addc_u32 s48, s49, s54
	s_addc_u32 s49, s52, 0
	s_add_u32 s48, s48, s45
	s_addc_u32 s49, 0, s49
	s_mul_hi_u32 s45, s46, s48
	s_mul_i32 s52, s46, s49
	s_mul_i32 s53, s46, s48
	s_add_i32 s45, s45, s52
	v_sub_co_u32 v0, s52, s24, s53
	s_mul_i32 s51, s47, s48
	s_add_i32 s45, s45, s51
	v_sub_co_u32 v1, s53, v0, s46
	s_sub_i32 s51, s25, s45
	s_cmp_lg_u32 s52, 0
	s_subb_u32 s51, s51, s47
	s_cmp_lg_u32 s53, 0
	v_readfirstlane_b32 s53, v1
	s_subb_u32 s51, s51, 0
	s_cmp_ge_u32 s51, s47
	s_cselect_b32 s54, -1, 0
	s_cmp_ge_u32 s53, s46
	s_cselect_b32 s53, -1, 0
	s_cmp_eq_u32 s51, s47
	s_cselect_b32 s51, s53, s54
	s_add_u32 s53, s48, 1
	s_addc_u32 s54, s49, 0
	s_add_u32 s55, s48, 2
	s_addc_u32 s56, s49, 0
	s_cmp_lg_u32 s51, 0
	s_cselect_b32 s51, s55, s53
	s_cselect_b32 s53, s56, s54
	s_cmp_lg_u32 s52, 0
	v_readfirstlane_b32 s52, v0
	s_subb_u32 s45, s25, s45
	s_cmp_ge_u32 s45, s47
	s_cselect_b32 s54, -1, 0
	s_cmp_ge_u32 s52, s46
	s_cselect_b32 s52, -1, 0
	s_cmp_eq_u32 s45, s47
	s_cselect_b32 s45, s52, s54
	s_cmp_lg_u32 s45, 0
	s_mov_b32 s45, 0
	s_cselect_b32 s49, s53, s49
	s_cselect_b32 s48, s51, s48
.LBB0_6:                                ;   in Loop: Header=BB0_4 Depth=1
	s_andn2_b32 vcc_lo, exec_lo, s45
	s_cbranch_vccnz .LBB0_8
; %bb.7:                                ;   in Loop: Header=BB0_4 Depth=1
	v_cvt_f32_u32_e32 v0, s46
	s_sub_i32 s48, 0, s46
	v_rcp_iflag_f32_e32 v0, v0
	v_mul_f32_e32 v0, 0x4f7ffffe, v0
	v_cvt_u32_f32_e32 v0, v0
	v_readfirstlane_b32 s45, v0
	s_mul_i32 s48, s48, s45
	s_mul_hi_u32 s48, s45, s48
	s_add_i32 s45, s45, s48
	s_mul_hi_u32 s45, s24, s45
	s_mul_i32 s48, s45, s46
	s_add_i32 s49, s45, 1
	s_sub_i32 s48, s24, s48
	s_sub_i32 s51, s48, s46
	s_cmp_ge_u32 s48, s46
	s_cselect_b32 s45, s49, s45
	s_cselect_b32 s48, s51, s48
	s_add_i32 s49, s45, 1
	s_cmp_ge_u32 s48, s46
	s_cselect_b32 s48, s49, s45
	s_mov_b32 s49, s44
.LBB0_8:                                ;   in Loop: Header=BB0_4 Depth=1
	s_load_dwordx2 s[52:53], s[40:41], 0x0
	s_load_dwordx2 s[54:55], s[38:39], 0x0
	s_mul_i32 s37, s46, s37
	s_mul_hi_u32 s45, s46, s36
	s_mul_i32 s51, s47, s36
	s_mul_i32 s47, s48, s47
	s_mul_hi_u32 s56, s48, s46
	s_mul_i32 s57, s49, s46
	s_add_i32 s37, s45, s37
	s_add_i32 s45, s56, s47
	s_mul_i32 s58, s48, s46
	s_add_i32 s37, s37, s51
	s_add_i32 s45, s45, s57
	s_sub_u32 s24, s24, s58
	s_subb_u32 s25, s25, s45
	s_mul_i32 s36, s46, s36
	s_waitcnt lgkmcnt(0)
	s_mul_i32 s45, s52, s25
	s_mul_hi_u32 s47, s52, s24
	s_mul_i32 s51, s53, s24
	s_add_i32 s45, s47, s45
	s_mul_i32 s52, s52, s24
	s_mul_i32 s25, s54, s25
	s_mul_hi_u32 s47, s54, s24
	s_add_i32 s45, s45, s51
	s_add_u32 s34, s52, s34
	s_addc_u32 s35, s45, s35
	s_add_i32 s25, s47, s25
	s_mul_i32 s45, s55, s24
	s_mul_i32 s24, s54, s24
	s_add_i32 s25, s25, s45
	s_add_u32 s4, s24, s4
	s_addc_u32 s5, s25, s5
	s_add_u32 s42, s42, 1
	s_addc_u32 s43, s43, 0
	s_add_u32 s38, s38, 8
	v_cmp_ge_u64_e64 s24, s[42:43], s[14:15]
	s_addc_u32 s39, s39, 0
	s_add_u32 s40, s40, 8
	s_addc_u32 s41, s41, 0
	s_add_u32 s20, s20, 8
	s_addc_u32 s21, s21, 0
	s_and_b32 vcc_lo, exec_lo, s24
	s_cbranch_vccnz .LBB0_10
; %bb.9:                                ;   in Loop: Header=BB0_4 Depth=1
	s_mov_b64 s[24:25], s[48:49]
	s_branch .LBB0_4
.LBB0_10:
	v_cmp_lt_u64_e64 s7, s[6:7], s[36:37]
	s_mov_b64 s[24:25], 0
	s_and_b32 vcc_lo, exec_lo, s7
	s_cbranch_vccnz .LBB0_12
; %bb.11:
	v_cvt_f32_u32_e32 v0, s36
	s_sub_i32 s20, 0, s36
	v_rcp_iflag_f32_e32 v0, v0
	v_mul_f32_e32 v0, 0x4f7ffffe, v0
	v_cvt_u32_f32_e32 v0, v0
	v_readfirstlane_b32 s7, v0
	s_mul_i32 s20, s20, s7
	s_mul_hi_u32 s20, s7, s20
	s_add_i32 s7, s7, s20
	s_mul_hi_u32 s7, s6, s7
	s_mul_i32 s20, s7, s36
	s_sub_i32 s6, s6, s20
	s_add_i32 s20, s7, 1
	s_sub_i32 s21, s6, s36
	s_cmp_ge_u32 s6, s36
	s_cselect_b32 s7, s20, s7
	s_cselect_b32 s6, s21, s6
	s_add_i32 s20, s7, 1
	s_cmp_ge_u32 s6, s36
	s_cselect_b32 s24, s20, s7
.LBB0_12:
	v_mul_u32_u24_e32 v0, 0x2493, v2
	s_lshl_b64 s[6:7], s[14:15], 3
	buffer_store_dword v2, off, s[68:71], 0 offset:36 ; 4-byte Folded Spill
	s_add_u32 s60, s30, s6
	s_addc_u32 s61, s31, s7
	v_lshrrev_b32_e32 v0, 16, v0
                                        ; implicit-def: $vgpr7_vgpr8
                                        ; implicit-def: $vgpr11_vgpr12
                                        ; implicit-def: $vgpr15_vgpr16
                                        ; implicit-def: $vgpr19_vgpr20
                                        ; implicit-def: $vgpr23_vgpr24
                                        ; implicit-def: $vgpr27_vgpr28
                                        ; implicit-def: $vgpr35_vgpr36
                                        ; implicit-def: $vgpr39_vgpr40
                                        ; implicit-def: $vgpr43_vgpr44
                                        ; implicit-def: $vgpr63_vgpr64
                                        ; implicit-def: $vgpr67_vgpr68
                                        ; implicit-def: $vgpr55_vgpr56
                                        ; implicit-def: $vgpr59_vgpr60
                                        ; implicit-def: $vgpr51_vgpr52
                                        ; implicit-def: $vgpr47_vgpr48
                                        ; implicit-def: $vgpr31_vgpr32
                                        ; implicit-def: $vgpr3_vgpr4
	v_mul_lo_u16 v1, v0, 7
	v_sub_nc_u16 v1, v2, v1
	v_and_b32_e32 v1, 0xffff, v1
	v_add_co_u32 v69, s14, s50, v1
	v_add_co_ci_u32_e64 v70, null, s33, 0, s14
	s_add_u32 s14, s50, 7
	s_addc_u32 s15, s33, 0
	buffer_store_dword v1, off, s[68:71], 0 ; 4-byte Folded Spill
	v_cmp_le_u64_e64 s14, s[14:15], s[28:29]
	v_cmp_gt_u64_e32 vcc_lo, s[28:29], v[69:70]
                                        ; kill: def $vgpr1_vgpr2 killed $sgpr0_sgpr1 killed $exec
	s_or_b32 s25, s14, vcc_lo
	s_and_saveexec_b32 s14, s25
	s_cbranch_execz .LBB0_14
; %bb.13:
	buffer_load_dword v7, off, s[68:71], 0  ; 4-byte Folded Reload
	s_add_u32 s6, s22, s6
	s_addc_u32 s7, s23, s7
	v_add_nc_u32_e32 v10, 17, v0
	s_load_dwordx2 s[6:7], s[6:7], 0x0
	v_mad_u64_u32 v[3:4], null, s16, v0, 0
	v_add_nc_u32_e32 v12, 34, v0
	v_mad_u64_u32 v[5:6], null, s16, v10, 0
	v_add_nc_u32_e32 v14, 51, v0
	v_add_nc_u32_e32 v16, 0x44, v0
	;; [unrolled: 1-line block ×11, first 2 shown]
	v_mad_u64_u32 v[26:27], null, s16, v35, 0
	s_waitcnt lgkmcnt(0)
	s_mul_i32 s7, s7, s24
	s_mul_hi_u32 s15, s6, s24
	s_mul_i32 s6, s6, s24
	s_add_i32 s7, s15, s7
	v_mad_u64_u32 v[33:34], null, s16, v37, 0
	s_lshl_b64 s[6:7], s[6:7], 4
	s_add_u32 s8, s8, s6
	s_addc_u32 s9, s9, s7
	s_lshl_b64 s[6:7], s[34:35], 4
	s_add_u32 s6, s8, s6
	s_addc_u32 s7, s9, s7
	s_waitcnt vmcnt(0)
	v_mad_u64_u32 v[1:2], null, s18, v7, 0
	v_mad_u64_u32 v[7:8], null, s19, v7, v[2:3]
	v_mad_u64_u32 v[8:9], null, s17, v0, v[4:5]
	v_mov_b32_e32 v2, v7
	v_mad_u64_u32 v[9:10], null, s17, v10, v[6:7]
	v_mov_b32_e32 v4, v8
	v_mad_u64_u32 v[7:8], null, s16, v12, 0
	v_lshlrev_b64 v[1:2], 4, v[1:2]
	v_mad_u64_u32 v[10:11], null, s16, v14, 0
	v_lshlrev_b64 v[3:4], 4, v[3:4]
	v_mov_b32_e32 v6, v9
	v_add_co_u32 v72, vcc_lo, s6, v1
	v_add_co_ci_u32_e32 v73, vcc_lo, s7, v2, vcc_lo
	v_lshlrev_b64 v[5:6], 4, v[5:6]
	v_add_co_u32 v1, vcc_lo, v72, v3
	v_add_co_ci_u32_e32 v2, vcc_lo, v73, v4, vcc_lo
	v_mov_b32_e32 v3, v8
	v_mov_b32_e32 v4, v11
	v_mad_u64_u32 v[8:9], null, s17, v12, v[3:4]
	v_mad_u64_u32 v[12:13], null, s16, v16, 0
	;; [unrolled: 1-line block ×4, first 2 shown]
	v_add_co_u32 v5, vcc_lo, v72, v5
	v_mov_b32_e32 v4, v13
	v_add_co_ci_u32_e32 v6, vcc_lo, v73, v6, vcc_lo
	v_mov_b32_e32 v11, v3
	v_mov_b32_e32 v9, v15
	v_mad_u64_u32 v[16:17], null, s17, v16, v[4:5]
	s_clause 0x1
	global_load_dwordx4 v[1:4], v[1:2], off
	global_load_dwordx4 v[29:32], v[5:6], off
	v_lshlrev_b64 v[5:6], 4, v[10:11]
	v_mad_u64_u32 v[9:10], null, s17, v18, v[9:10]
	v_mad_u64_u32 v[10:11], null, s16, v19, 0
	v_lshlrev_b64 v[7:8], 4, v[7:8]
	v_mov_b32_e32 v13, v16
	v_mad_u64_u32 v[16:17], null, s16, v21, 0
	v_mov_b32_e32 v15, v9
	v_add_co_u32 v7, vcc_lo, v72, v7
	v_lshlrev_b64 v[12:13], 4, v[12:13]
	v_mov_b32_e32 v9, v11
	v_add_co_ci_u32_e32 v8, vcc_lo, v73, v8, vcc_lo
	v_add_co_u32 v5, vcc_lo, v72, v5
	v_lshlrev_b64 v[14:15], 4, v[14:15]
	v_add_co_ci_u32_e32 v6, vcc_lo, v73, v6, vcc_lo
	v_add_co_u32 v12, vcc_lo, v72, v12
	v_mad_u64_u32 v[18:19], null, s17, v19, v[9:10]
	v_add_co_ci_u32_e32 v13, vcc_lo, v73, v13, vcc_lo
	v_add_co_u32 v14, vcc_lo, v72, v14
	v_mov_b32_e32 v9, v17
	v_add_co_ci_u32_e32 v15, vcc_lo, v73, v15, vcc_lo
	v_mad_u64_u32 v[19:20], null, s16, v23, 0
	v_mov_b32_e32 v11, v18
	v_mad_u64_u32 v[21:22], null, s17, v21, v[9:10]
	s_clause 0x3
	global_load_dwordx4 v[45:48], v[7:8], off
	global_load_dwordx4 v[49:52], v[5:6], off
	;; [unrolled: 1-line block ×4, first 2 shown]
	v_add_nc_u32_e32 v15, 0x99, v0
	v_lshlrev_b64 v[6:7], 4, v[10:11]
	v_mov_b32_e32 v5, v20
	v_mov_b32_e32 v17, v21
	v_mad_u64_u32 v[8:9], null, s16, v15, 0
	v_add_nc_u32_e32 v21, 0xaa, v0
	v_mad_u64_u32 v[10:11], null, s17, v23, v[5:6]
	v_add_co_u32 v5, vcc_lo, v72, v6
	v_add_co_ci_u32_e32 v6, vcc_lo, v73, v7, vcc_lo
	v_lshlrev_b64 v[11:12], 4, v[16:17]
	v_mov_b32_e32 v7, v9
	v_mad_u64_u32 v[13:14], null, s16, v21, 0
	v_mov_b32_e32 v20, v10
	v_mad_u64_u32 v[9:10], null, s17, v15, v[7:8]
	v_add_co_u32 v10, vcc_lo, v72, v11
	v_add_co_ci_u32_e32 v11, vcc_lo, v73, v12, vcc_lo
	v_add_nc_u32_e32 v12, 0xbb, v0
	v_mov_b32_e32 v7, v14
	v_lshlrev_b64 v[15:16], 4, v[19:20]
	s_clause 0x1
	global_load_dwordx4 v[65:68], v[5:6], off
	global_load_dwordx4 v[61:64], v[10:11], off
	v_mad_u64_u32 v[17:18], null, s16, v12, 0
	v_mad_u64_u32 v[19:20], null, s17, v21, v[7:8]
	v_lshlrev_b64 v[7:8], 4, v[8:9]
	v_add_co_u32 v15, vcc_lo, v72, v15
	v_add_co_ci_u32_e32 v16, vcc_lo, v73, v16, vcc_lo
	v_mov_b32_e32 v9, v18
	v_mov_b32_e32 v14, v19
	v_mad_u64_u32 v[19:20], null, s16, v24, 0
	v_add_co_u32 v7, vcc_lo, v72, v7
	v_mad_u64_u32 v[21:22], null, s17, v12, v[9:10]
	v_mad_u64_u32 v[22:23], null, s16, v25, 0
	v_mov_b32_e32 v9, v20
	v_lshlrev_b64 v[12:13], 4, v[13:14]
	v_add_co_ci_u32_e32 v8, vcc_lo, v73, v8, vcc_lo
	v_mov_b32_e32 v18, v21
	v_mad_u64_u32 v[20:21], null, s17, v24, v[9:10]
	v_mov_b32_e32 v9, v23
	v_add_co_u32 v12, vcc_lo, v72, v12
	v_lshlrev_b64 v[17:18], 4, v[17:18]
	v_add_co_ci_u32_e32 v13, vcc_lo, v73, v13, vcc_lo
	v_mad_u64_u32 v[23:24], null, s17, v25, v[9:10]
	v_mad_u64_u32 v[24:25], null, s16, v28, 0
	v_lshlrev_b64 v[19:20], 4, v[19:20]
	v_add_co_u32 v17, vcc_lo, v72, v17
	v_mov_b32_e32 v14, v27
	v_lshlrev_b64 v[21:22], 4, v[22:23]
	v_add_co_ci_u32_e32 v18, vcc_lo, v73, v18, vcc_lo
	v_mov_b32_e32 v9, v25
	v_add_co_u32 v19, vcc_lo, v72, v19
	v_add_co_ci_u32_e32 v20, vcc_lo, v73, v20, vcc_lo
	v_mad_u64_u32 v[27:28], null, s17, v28, v[9:10]
	v_mov_b32_e32 v9, v34
	v_mad_u64_u32 v[35:36], null, s17, v35, v[14:15]
	v_add_co_u32 v70, vcc_lo, v72, v21
	v_add_co_ci_u32_e32 v71, vcc_lo, v73, v22, vcc_lo
	v_mad_u64_u32 v[21:22], null, s17, v37, v[9:10]
	v_mov_b32_e32 v25, v27
	v_mov_b32_e32 v27, v35
	s_clause 0x1
	global_load_dwordx4 v[41:44], v[15:16], off
	global_load_dwordx4 v[37:40], v[7:8], off
	v_lshlrev_b64 v[5:6], 4, v[24:25]
	v_mov_b32_e32 v34, v21
	v_lshlrev_b64 v[7:8], 4, v[26:27]
	v_add_co_u32 v5, vcc_lo, v72, v5
	v_lshlrev_b64 v[9:10], 4, v[33:34]
	v_add_co_ci_u32_e32 v6, vcc_lo, v73, v6, vcc_lo
	v_add_co_u32 v7, vcc_lo, v72, v7
	v_add_co_ci_u32_e32 v8, vcc_lo, v73, v8, vcc_lo
	v_add_co_u32 v72, vcc_lo, v72, v9
	v_add_co_ci_u32_e32 v73, vcc_lo, v73, v10, vcc_lo
	s_clause 0x6
	global_load_dwordx4 v[33:36], v[12:13], off
	global_load_dwordx4 v[25:28], v[17:18], off
	;; [unrolled: 1-line block ×7, first 2 shown]
.LBB0_14:
	s_or_b32 exec_lo, exec_lo, s14
	s_waitcnt vmcnt(15)
	v_add_f64 v[70:71], v[29:30], v[1:2]
	v_add_f64 v[72:73], v[31:32], v[3:4]
	s_waitcnt vmcnt(7)
	v_add_f64 v[78:79], v[41:42], -v[37:38]
	v_add_f64 v[80:81], v[43:44], -v[39:40]
	s_waitcnt vmcnt(0)
	v_add_f64 v[120:121], v[5:6], v[29:30]
	v_add_f64 v[122:123], v[7:8], v[31:32]
	v_add_f64 v[29:30], v[29:30], -v[5:6]
	v_add_f64 v[31:32], v[31:32], -v[7:8]
	s_mov_b32 s40, 0x5d8e7cdc
	s_mov_b32 s44, 0x2a9d6da3
	;; [unrolled: 1-line block ×16, first 2 shown]
	v_add_f64 v[70:71], v[45:46], v[70:71]
	v_add_f64 v[72:73], v[47:48], v[72:73]
	;; [unrolled: 1-line block ×4, first 2 shown]
	v_mul_f64 v[144:145], v[29:30], s[40:41]
	v_mul_f64 v[124:125], v[31:32], s[40:41]
	;; [unrolled: 1-line block ×18, first 2 shown]
	buffer_store_dword v29, off, s[68:71], 0 offset:4 ; 4-byte Folded Spill
	buffer_store_dword v30, off, s[68:71], 0 offset:8 ; 4-byte Folded Spill
	;; [unrolled: 1-line block ×4, first 2 shown]
	v_add_f64 v[74:75], v[49:50], v[70:71]
	v_add_f64 v[76:77], v[51:52], v[72:73]
	v_add_f64 v[94:95], v[65:66], -v[25:26]
	v_add_f64 v[96:97], v[67:68], -v[27:28]
	;; [unrolled: 1-line block ×4, first 2 shown]
	v_add_f64 v[72:73], v[39:40], v[43:44]
	v_add_f64 v[90:91], v[21:22], v[53:54]
	;; [unrolled: 1-line block ×3, first 2 shown]
	v_add_f64 v[102:103], v[53:54], -v[21:22]
	v_add_f64 v[104:105], v[55:56], -v[23:24]
	v_add_f64 v[98:99], v[17:18], v[57:58]
	v_add_f64 v[100:101], v[19:20], v[59:60]
	v_add_f64 v[106:107], v[57:58], -v[17:18]
	v_add_f64 v[108:109], v[59:60], -v[19:20]
	s_mov_b32 s6, 0x370991
	s_mov_b32 s7, 0x3fedd6d0
	s_mov_b32 s28, 0x75d4884
	v_fma_f64 v[200:201], v[120:121], s[6:7], v[124:125]
	v_fma_f64 v[204:205], v[122:123], s[6:7], -v[144:145]
	s_mov_b32 s8, 0x2b2883cd
	s_mov_b32 s20, 0x3259b75e
	v_add_f64 v[110:111], v[57:58], v[74:75]
	v_add_f64 v[112:113], v[59:60], v[76:77]
	;; [unrolled: 1-line block ×6, first 2 shown]
	s_mov_b32 s22, 0xc61f0d01
	s_mov_b32 s18, 0x6ed5f1bb
	;; [unrolled: 1-line block ×11, first 2 shown]
	v_fma_f64 v[124:125], v[120:121], s[6:7], -v[124:125]
	v_fma_f64 v[216:217], v[120:121], s[28:29], v[126:127]
	v_fma_f64 v[126:127], v[120:121], s[28:29], -v[126:127]
	v_fma_f64 v[218:219], v[120:121], s[8:9], v[128:129]
	v_fma_f64 v[128:129], v[120:121], s[8:9], -v[128:129]
	v_add_f64 v[110:111], v[53:54], v[110:111]
	v_add_f64 v[112:113], v[55:56], v[112:113]
	v_add_f64 v[53:54], v[49:50], -v[13:14]
	v_add_f64 v[55:56], v[51:52], -v[15:16]
	v_add_f64 v[49:50], v[9:10], v[45:46]
	v_add_f64 v[51:52], v[11:12], v[47:48]
	v_add_f64 v[45:46], v[45:46], -v[9:10]
	v_add_f64 v[47:48], v[47:48], -v[11:12]
	v_fma_f64 v[220:221], v[120:121], s[20:21], v[130:131]
	v_add_f64 v[200:201], v[1:2], v[200:201]
	v_add_f64 v[204:205], v[3:4], v[204:205]
	v_fma_f64 v[226:227], v[120:121], s[16:17], v[136:137]
	v_fma_f64 v[136:137], v[120:121], s[16:17], -v[136:137]
	v_fma_f64 v[228:229], v[120:121], s[14:15], v[142:143]
	v_fma_f64 v[142:143], v[120:121], s[14:15], -v[142:143]
	v_fma_f64 v[230:231], v[122:123], s[8:9], -v[148:149]
	s_mov_b32 s59, 0x3fc7851a
	s_mov_b32 s58, s38
	v_add_f64 v[216:217], v[1:2], v[216:217]
	v_mul_f64 v[166:167], v[108:109], s[38:39]
	v_mul_f64 v[168:169], v[106:107], s[38:39]
	v_fma_f64 v[148:149], v[122:123], s[8:9], v[148:149]
	v_add_f64 v[65:66], v[65:66], v[110:111]
	v_add_f64 v[67:68], v[67:68], v[112:113]
	v_mul_f64 v[114:115], v[53:54], s[46:47]
	v_mul_f64 v[112:113], v[55:56], s[46:47]
	;; [unrolled: 1-line block ×12, first 2 shown]
	v_fma_f64 v[232:233], v[122:123], s[20:21], -v[150:151]
	v_fma_f64 v[150:151], v[122:123], s[20:21], v[150:151]
	v_fma_f64 v[234:235], v[122:123], s[18:19], -v[154:155]
	v_fma_f64 v[154:155], v[122:123], s[18:19], v[154:155]
	;; [unrolled: 2-line block ×3, first 2 shown]
	v_add_f64 v[126:127], v[1:2], v[126:127]
	v_add_f64 v[218:219], v[1:2], v[218:219]
	;; [unrolled: 1-line block ×4, first 2 shown]
	v_mul_f64 v[67:68], v[108:109], s[42:43]
	v_mul_f64 v[65:66], v[102:103], s[30:31]
	v_fma_f64 v[238:239], v[100:101], s[20:21], -v[110:111]
	v_add_f64 v[230:231], v[3:4], v[230:231]
	v_fma_f64 v[224:225], v[51:52], s[28:29], -v[118:119]
	v_fma_f64 v[222:223], v[49:50], s[28:29], v[116:117]
	v_fma_f64 v[244:245], v[51:52], s[20:21], -v[160:161]
	v_add_f64 v[128:129], v[1:2], v[128:129]
	v_fma_f64 v[248:249], v[49:50], s[18:19], v[184:185]
	v_fma_f64 v[250:251], v[51:52], s[18:19], -v[186:187]
	v_fma_f64 v[184:185], v[49:50], s[18:19], -v[184:185]
	s_mov_b32 s57, 0x3fe0d888
	s_mov_b32 s55, 0x3feec746
	;; [unrolled: 1-line block ×4, first 2 shown]
	v_mul_f64 v[170:171], v[104:105], s[56:57]
	v_mul_f64 v[172:173], v[102:103], s[56:57]
	s_mov_b32 s53, 0x3fe58eea
	s_mov_b32 s52, s44
	v_add_f64 v[70:71], v[37:38], v[41:42]
	v_add_f64 v[138:139], v[41:42], v[61:62]
	;; [unrolled: 1-line block ×3, first 2 shown]
	v_mul_f64 v[63:64], v[104:105], s[30:31]
	v_mul_f64 v[43:44], v[96:97], s[34:35]
	;; [unrolled: 1-line block ×3, first 2 shown]
	v_fma_f64 v[246:247], v[92:93], s[22:23], -v[65:66]
	v_add_f64 v[204:205], v[224:225], v[204:205]
	v_add_f64 v[200:201], v[222:223], v[200:201]
	v_fma_f64 v[222:223], v[59:60], s[8:9], -v[114:115]
	v_fma_f64 v[224:225], v[122:123], s[14:15], -v[158:159]
	v_fma_f64 v[158:159], v[122:123], s[14:15], v[158:159]
	v_add_f64 v[218:219], v[248:249], v[218:219]
	v_fma_f64 v[248:249], v[57:58], s[14:15], v[188:189]
	v_add_f64 v[230:231], v[250:251], v[230:231]
	v_fma_f64 v[250:251], v[59:60], s[14:15], -v[190:191]
	v_add_f64 v[184:185], v[184:185], v[128:129]
	v_mul_f64 v[41:42], v[88:89], s[36:37]
	v_mul_f64 v[174:175], v[96:97], s[54:55]
	;; [unrolled: 1-line block ×6, first 2 shown]
	v_add_f64 v[138:139], v[37:38], v[138:139]
	v_add_f64 v[39:40], v[39:40], v[140:141]
	v_mul_f64 v[140:141], v[47:48], s[42:43]
	v_fma_f64 v[240:241], v[90:91], s[22:23], v[63:64]
	v_mul_f64 v[37:38], v[86:87], s[36:37]
	v_mul_f64 v[206:207], v[45:46], s[38:39]
	v_fma_f64 v[186:187], v[51:52], s[18:19], v[186:187]
	s_mov_b32 s49, 0x3feca52d
	v_add_f64 v[204:205], v[222:223], v[204:205]
	s_mov_b32 s48, s46
	v_mul_f64 v[196:197], v[96:97], s[40:41]
	v_mul_f64 v[178:179], v[88:89], s[48:49]
	v_add_f64 v[218:219], v[248:249], v[218:219]
	v_mul_f64 v[198:199], v[94:95], s[40:41]
	v_add_f64 v[230:231], v[250:251], v[230:231]
	v_mul_f64 v[208:209], v[55:56], s[54:55]
	v_mul_f64 v[210:211], v[53:54], s[54:55]
	v_fma_f64 v[252:253], v[82:83], s[22:23], v[174:175]
	v_fma_f64 v[188:189], v[57:58], s[14:15], -v[188:189]
	v_fma_f64 v[190:191], v[59:60], s[14:15], v[190:191]
	s_mov_b32 s51, 0x3fd71e95
	s_mov_b32 s50, s40
	v_add_f64 v[33:34], v[33:34], v[138:139]
	v_add_f64 v[35:36], v[35:36], v[39:40]
	v_fma_f64 v[242:243], v[49:50], s[20:21], v[140:141]
	v_mul_f64 v[39:40], v[108:109], s[54:55]
	v_mul_f64 v[138:139], v[106:107], s[54:55]
	v_fma_f64 v[222:223], v[76:77], s[16:17], -v[37:38]
	v_mul_f64 v[180:181], v[86:87], s[48:49]
	v_mul_f64 v[182:183], v[80:81], s[50:51]
	v_add_f64 v[204:205], v[238:239], v[204:205]
	v_fma_f64 v[238:239], v[92:93], s[16:17], -v[172:173]
	v_fma_f64 v[172:173], v[92:93], s[16:17], v[172:173]
	v_mul_f64 v[212:213], v[108:109], s[50:51]
	v_mul_f64 v[214:215], v[106:107], s[50:51]
	v_fma_f64 v[174:175], v[82:83], s[22:23], -v[174:175]
	v_fma_f64 v[248:249], v[82:83], s[6:7], v[196:197]
	v_fma_f64 v[250:251], v[84:85], s[6:7], -v[198:199]
	v_add_f64 v[150:151], v[3:4], v[150:151]
	v_add_f64 v[234:235], v[3:4], v[234:235]
	;; [unrolled: 1-line block ×3, first 2 shown]
	s_mov_b32 s63, 0x3fe9895b
	s_mov_b32 s62, s34
	;; [unrolled: 1-line block ×3, first 2 shown]
	v_add_f64 v[25:26], v[25:26], v[33:34]
	v_add_f64 v[27:28], v[27:28], v[35:36]
	v_fma_f64 v[33:34], v[120:121], s[20:21], -v[130:131]
	v_fma_f64 v[35:36], v[120:121], s[22:23], v[132:133]
	v_fma_f64 v[130:131], v[120:121], s[22:23], -v[132:133]
	v_fma_f64 v[132:133], v[120:121], s[18:19], v[134:135]
	v_fma_f64 v[134:135], v[120:121], s[18:19], -v[134:135]
	v_fma_f64 v[120:121], v[122:123], s[6:7], v[144:145]
	v_fma_f64 v[144:145], v[122:123], s[28:29], -v[146:147]
	v_fma_f64 v[146:147], v[122:123], s[28:29], v[146:147]
	v_add_f64 v[216:217], v[242:243], v[216:217]
	v_fma_f64 v[242:243], v[57:58], s[18:19], v[162:163]
	v_fma_f64 v[162:163], v[57:58], s[18:19], -v[162:163]
	v_add_f64 v[204:205], v[246:247], v[204:205]
	v_fma_f64 v[254:255], v[98:99], s[22:23], -v[39:40]
	v_fma_f64 v[246:247], v[90:91], s[28:29], v[192:193]
	s_mov_b32 s64, s42
	v_fma_f64 v[37:38], v[76:77], s[16:17], v[37:38]
	v_add_f64 v[21:22], v[21:22], v[25:26]
	v_add_f64 v[23:24], v[23:24], v[27:28]
	v_fma_f64 v[25:26], v[57:58], s[8:9], v[112:113]
	v_fma_f64 v[27:28], v[122:123], s[22:23], -v[152:153]
	v_fma_f64 v[152:153], v[122:123], s[22:23], v[152:153]
	v_fma_f64 v[122:123], v[98:99], s[20:21], v[67:68]
	v_add_f64 v[132:133], v[1:2], v[132:133]
	v_add_f64 v[144:145], v[3:4], v[144:145]
	;; [unrolled: 1-line block ×4, first 2 shown]
	v_fma_f64 v[216:217], v[84:85], s[22:23], -v[176:177]
	v_fma_f64 v[242:243], v[74:75], s[8:9], v[178:179]
	v_fma_f64 v[176:177], v[84:85], s[22:23], v[176:177]
	v_add_f64 v[17:18], v[17:18], v[21:22]
	v_add_f64 v[19:20], v[19:20], v[23:24]
	v_fma_f64 v[23:24], v[49:50], s[20:21], -v[140:141]
	v_fma_f64 v[140:141], v[51:52], s[20:21], v[160:161]
	v_add_f64 v[25:26], v[25:26], v[200:201]
	v_fma_f64 v[21:22], v[82:83], s[18:19], v[43:44]
	v_fma_f64 v[160:161], v[84:85], s[18:19], -v[61:62]
	v_fma_f64 v[200:201], v[74:75], s[16:17], v[41:42]
	v_add_f64 v[144:145], v[244:245], v[144:145]
	v_fma_f64 v[244:245], v[59:60], s[18:19], -v[164:165]
	v_fma_f64 v[164:165], v[59:60], s[18:19], v[164:165]
	v_add_f64 v[152:153], v[3:4], v[152:153]
	v_fma_f64 v[43:44], v[82:83], s[18:19], -v[43:44]
	v_fma_f64 v[41:42], v[74:75], s[16:17], -v[41:42]
	v_add_f64 v[13:14], v[13:14], v[17:18]
	v_add_f64 v[15:16], v[15:16], v[19:20]
	;; [unrolled: 1-line block ×3, first 2 shown]
	v_fma_f64 v[126:127], v[98:99], s[14:15], v[166:167]
	v_add_f64 v[140:141], v[140:141], v[146:147]
	v_fma_f64 v[146:147], v[100:101], s[14:15], -v[168:169]
	v_add_f64 v[25:26], v[122:123], v[25:26]
	v_fma_f64 v[122:123], v[90:91], s[16:17], v[170:171]
	v_fma_f64 v[166:167], v[98:99], s[14:15], -v[166:167]
	v_add_f64 v[144:145], v[244:245], v[144:145]
	v_fma_f64 v[168:169], v[100:101], s[14:15], v[168:169]
	v_fma_f64 v[244:245], v[100:101], s[22:23], -v[138:139]
	v_fma_f64 v[170:171], v[90:91], s[16:17], -v[170:171]
	v_add_f64 v[160:161], v[160:161], v[204:205]
	v_fma_f64 v[138:139], v[100:101], s[22:23], v[138:139]
	v_fma_f64 v[204:205], v[59:60], s[22:23], -v[210:211]
	v_add_f64 v[9:10], v[9:10], v[13:14]
	v_add_f64 v[11:12], v[11:12], v[15:16]
	;; [unrolled: 1-line block ×5, first 2 shown]
	v_fma_f64 v[164:165], v[92:93], s[28:29], -v[194:195]
	v_add_f64 v[25:26], v[240:241], v[25:26]
	v_fma_f64 v[240:241], v[98:99], s[22:23], v[39:40]
	v_add_f64 v[39:40], v[126:127], v[128:129]
	v_add_f64 v[128:129], v[3:4], v[148:149]
	;; [unrolled: 1-line block ×3, first 2 shown]
	v_fma_f64 v[126:127], v[49:50], s[14:15], v[202:203]
	v_fma_f64 v[146:147], v[51:52], s[14:15], -v[206:207]
	v_add_f64 v[27:28], v[1:2], v[134:135]
	v_fma_f64 v[148:149], v[57:58], s[22:23], v[208:209]
	v_add_f64 v[160:161], v[222:223], v[160:161]
	v_add_f64 v[15:16], v[188:189], v[184:185]
	v_fma_f64 v[188:189], v[51:52], s[14:15], v[206:207]
	v_add_f64 v[5:6], v[5:6], v[9:10]
	v_add_f64 v[7:8], v[7:8], v[11:12]
	;; [unrolled: 1-line block ×3, first 2 shown]
	v_mul_f64 v[11:12], v[88:89], s[42:43]
	v_add_f64 v[140:141], v[168:169], v[140:141]
	v_add_f64 v[168:169], v[244:245], v[230:231]
	;; [unrolled: 1-line block ×11, first 2 shown]
	v_mul_f64 v[188:189], v[108:109], s[46:47]
	v_add_f64 v[144:145], v[170:171], v[162:163]
	v_fma_f64 v[162:163], v[70:71], s[6:7], v[182:183]
	v_add_f64 v[140:141], v[172:173], v[140:141]
	v_fma_f64 v[170:171], v[74:75], s[20:21], v[11:12]
	v_add_f64 v[21:22], v[200:201], v[21:22]
	v_fma_f64 v[186:187], v[74:75], s[20:21], -v[11:12]
	v_mul_f64 v[200:201], v[53:54], s[40:41]
	v_fma_f64 v[17:18], v[70:71], s[14:15], v[29:30]
	v_fma_f64 v[19:20], v[72:73], s[14:15], -v[31:32]
	v_add_f64 v[29:30], v[1:2], v[124:125]
	v_add_f64 v[31:32], v[3:4], v[120:121]
	;; [unrolled: 1-line block ×13, first 2 shown]
	v_mul_f64 v[13:14], v[86:87], s[42:43]
	v_add_f64 v[39:40], v[1:2], v[228:229]
	v_mul_f64 v[164:165], v[78:79], s[50:51]
	v_add_f64 v[144:145], v[174:175], v[144:145]
	v_add_f64 v[140:141], v[176:177], v[140:141]
	v_fma_f64 v[168:169], v[76:77], s[8:9], v[180:181]
	v_mul_f64 v[174:175], v[80:81], s[36:37]
	v_add_f64 v[1:2], v[17:18], v[21:22]
	v_fma_f64 v[17:18], v[90:91], s[28:29], -v[192:193]
	v_mul_f64 v[176:177], v[78:79], s[36:37]
	v_fma_f64 v[190:191], v[57:58], s[22:23], -v[208:209]
	v_add_f64 v[126:127], v[126:127], v[120:121]
	v_add_f64 v[124:125], v[146:147], v[124:125]
	;; [unrolled: 1-line block ×7, first 2 shown]
	v_mul_f64 v[158:159], v[102:103], s[46:47]
	v_fma_f64 v[160:161], v[76:77], s[8:9], -v[180:181]
	v_fma_f64 v[166:167], v[74:75], s[8:9], -v[178:179]
	v_add_f64 v[156:157], v[250:251], v[156:157]
	v_add_f64 v[134:135], v[138:139], v[134:135]
	v_fma_f64 v[138:139], v[92:93], s[28:29], v[194:195]
	v_fma_f64 v[172:173], v[76:77], s[20:21], -v[13:14]
	v_mul_f64 v[178:179], v[96:97], s[36:37]
	v_fma_f64 v[180:181], v[49:50], s[14:15], -v[202:203]
	v_add_f64 v[140:141], v[168:169], v[140:141]
	v_fma_f64 v[168:169], v[70:71], s[6:7], -v[182:183]
	v_mul_f64 v[194:195], v[88:89], s[62:63]
	v_add_f64 v[15:16], v[17:18], v[15:16]
	v_fma_f64 v[17:18], v[82:83], s[6:7], -v[196:197]
	v_fma_f64 v[182:183], v[72:73], s[16:17], -v[176:177]
	v_add_f64 v[19:20], v[148:149], v[126:127]
	v_add_f64 v[21:22], v[204:205], v[124:125]
	v_fma_f64 v[124:125], v[98:99], s[6:7], v[212:213]
	v_fma_f64 v[126:127], v[100:101], s[6:7], -v[214:215]
	v_mul_f64 v[148:149], v[104:105], s[46:47]
	v_add_f64 v[142:143], v[242:243], v[142:143]
	v_add_f64 v[146:147], v[248:249], v[146:147]
	v_mul_f64 v[202:203], v[78:79], s[52:53]
	v_add_f64 v[160:161], v[160:161], v[9:10]
	v_add_f64 v[144:145], v[166:167], v[144:145]
	v_mul_f64 v[166:167], v[47:48], s[56:57]
	v_mul_f64 v[204:205], v[106:107], s[36:37]
	v_add_f64 v[134:135], v[138:139], v[134:135]
	v_fma_f64 v[138:139], v[84:85], s[6:7], v[198:199]
	v_add_f64 v[156:157], v[172:173], v[156:157]
	v_fma_f64 v[172:173], v[70:71], s[16:17], v[174:175]
	v_add_f64 v[180:181], v[180:181], v[220:221]
	v_mul_f64 v[198:199], v[55:56], s[52:53]
	v_mul_f64 v[208:209], v[94:95], s[64:65]
	v_add_f64 v[184:185], v[17:18], v[15:16]
	v_add_f64 v[19:20], v[124:125], v[19:20]
	;; [unrolled: 1-line block ×3, first 2 shown]
	v_fma_f64 v[124:125], v[90:91], s[8:9], v[148:149]
	v_fma_f64 v[126:127], v[92:93], s[8:9], -v[158:159]
	v_add_f64 v[9:10], v[162:163], v[142:143]
	v_fma_f64 v[142:143], v[72:73], s[6:7], -v[164:165]
	v_mul_f64 v[162:163], v[94:95], s[36:37]
	v_add_f64 v[146:147], v[170:171], v[146:147]
	v_fma_f64 v[164:165], v[72:73], s[6:7], v[164:165]
	v_mul_f64 v[170:171], v[45:46], s[56:57]
	v_fma_f64 v[196:197], v[49:50], s[16:17], v[166:167]
	v_add_f64 v[134:135], v[138:139], v[134:135]
	v_fma_f64 v[138:139], v[76:77], s[20:21], v[13:14]
	v_add_f64 v[13:14], v[168:169], v[144:145]
	v_add_f64 v[168:169], v[190:191], v[180:181]
	v_fma_f64 v[180:181], v[98:99], s[6:7], -v[212:213]
	v_fma_f64 v[148:149], v[90:91], s[8:9], -v[148:149]
	;; [unrolled: 1-line block ×3, first 2 shown]
	v_fma_f64 v[158:159], v[92:93], s[8:9], v[158:159]
	v_add_f64 v[124:125], v[124:125], v[19:20]
	v_add_f64 v[21:22], v[126:127], v[21:22]
	v_fma_f64 v[126:127], v[82:83], s[16:17], v[178:179]
	v_add_f64 v[11:12], v[142:143], v[160:161]
	v_fma_f64 v[192:193], v[84:85], s[16:17], -v[162:163]
	v_mul_f64 v[142:143], v[86:87], s[62:63]
	v_add_f64 v[17:18], v[172:173], v[146:147]
	v_add_f64 v[19:20], v[182:183], v[156:157]
	v_mul_f64 v[146:147], v[47:48], s[54:55]
	v_mul_f64 v[156:157], v[45:46], s[54:55]
	v_fma_f64 v[144:145], v[51:52], s[16:17], -v[170:171]
	v_mul_f64 v[160:161], v[53:54], s[52:53]
	v_add_f64 v[15:16], v[164:165], v[140:141]
	v_add_f64 v[140:141], v[186:187], v[184:185]
	v_fma_f64 v[172:173], v[59:60], s[22:23], v[210:211]
	v_fma_f64 v[182:183], v[74:75], s[18:19], v[194:195]
	v_add_f64 v[184:185], v[196:197], v[232:233]
	v_fma_f64 v[186:187], v[57:58], s[28:29], v[198:199]
	v_fma_f64 v[170:171], v[51:52], s[16:17], v[170:171]
	v_mul_f64 v[196:197], v[55:56], s[40:41]
	v_add_f64 v[168:169], v[180:181], v[168:169]
	v_add_f64 v[164:165], v[126:127], v[124:125]
	;; [unrolled: 1-line block ×4, first 2 shown]
	v_fma_f64 v[190:191], v[76:77], s[18:19], -v[142:143]
	v_fma_f64 v[134:135], v[49:50], s[16:17], -v[166:167]
	;; [unrolled: 1-line block ×3, first 2 shown]
	v_fma_f64 v[126:127], v[72:73], s[16:17], v[176:177]
	v_fma_f64 v[174:175], v[49:50], s[22:23], v[146:147]
	v_fma_f64 v[176:177], v[51:52], s[22:23], -v[156:157]
	v_mul_f64 v[192:193], v[80:81], s[52:53]
	v_add_f64 v[23:24], v[144:145], v[23:24]
	v_fma_f64 v[138:139], v[59:60], s[28:29], -v[160:161]
	v_mul_f64 v[144:145], v[106:107], s[46:47]
	v_add_f64 v[150:151], v[172:173], v[150:151]
	v_fma_f64 v[172:173], v[100:101], s[6:7], v[214:215]
	v_add_f64 v[180:181], v[186:187], v[184:185]
	v_add_f64 v[152:153], v[170:171], v[152:153]
	v_fma_f64 v[160:161], v[59:60], s[28:29], v[160:161]
	v_add_f64 v[148:149], v[148:149], v[168:169]
	v_fma_f64 v[168:169], v[82:83], s[16:17], -v[178:179]
	v_fma_f64 v[146:147], v[49:50], s[22:23], -v[146:147]
	v_fma_f64 v[156:157], v[51:52], s[22:23], v[156:157]
	v_add_f64 v[164:165], v[182:183], v[164:165]
	v_fma_f64 v[182:183], v[98:99], s[8:9], v[188:189]
	v_fma_f64 v[142:143], v[76:77], s[18:19], v[142:143]
	v_add_f64 v[184:185], v[190:191], v[21:22]
	v_mul_f64 v[190:191], v[104:105], s[38:39]
	v_add_f64 v[21:22], v[134:135], v[25:26]
	v_fma_f64 v[25:26], v[57:58], s[28:29], -v[198:199]
	v_add_f64 v[132:133], v[174:175], v[132:133]
	v_add_f64 v[170:171], v[176:177], v[234:235]
	v_fma_f64 v[174:175], v[57:58], s[6:7], v[196:197]
	v_fma_f64 v[176:177], v[59:60], s[6:7], -v[200:201]
	v_mul_f64 v[198:199], v[108:109], s[36:37]
	v_fma_f64 v[186:187], v[70:71], s[28:29], v[192:193]
	v_add_f64 v[23:24], v[138:139], v[23:24]
	v_fma_f64 v[134:135], v[100:101], s[8:9], -v[144:145]
	v_mul_f64 v[138:139], v[102:103], s[38:39]
	v_add_f64 v[150:151], v[172:173], v[150:151]
	v_add_f64 v[152:153], v[160:161], v[152:153]
	v_fma_f64 v[144:145], v[100:101], s[8:9], v[144:145]
	v_add_f64 v[148:149], v[168:169], v[148:149]
	v_add_f64 v[27:28], v[146:147], v[27:28]
	;; [unrolled: 1-line block ×3, first 2 shown]
	v_fma_f64 v[154:155], v[57:58], s[6:7], -v[196:197]
	v_add_f64 v[172:173], v[182:183], v[180:181]
	v_mul_f64 v[180:181], v[96:97], s[64:65]
	v_fma_f64 v[182:183], v[98:99], s[8:9], -v[188:189]
	v_fma_f64 v[178:179], v[90:91], s[14:15], v[190:191]
	v_fma_f64 v[156:157], v[59:60], s[6:7], v[200:201]
	v_add_f64 v[25:26], v[25:26], v[21:22]
	v_add_f64 v[21:22], v[166:167], v[140:141]
	v_mul_f64 v[196:197], v[55:56], s[42:43]
	v_add_f64 v[140:141], v[174:175], v[132:133]
	v_add_f64 v[160:161], v[176:177], v[170:171]
	v_fma_f64 v[166:167], v[98:99], s[16:17], v[198:199]
	v_fma_f64 v[170:171], v[100:101], s[16:17], -v[204:205]
	v_mul_f64 v[174:175], v[104:105], s[64:65]
	v_mul_f64 v[176:177], v[102:103], s[64:65]
	v_add_f64 v[23:24], v[134:135], v[23:24]
	v_fma_f64 v[188:189], v[92:93], s[14:15], -v[138:139]
	v_add_f64 v[132:133], v[186:187], v[164:165]
	v_add_f64 v[150:151], v[158:159], v[150:151]
	v_fma_f64 v[158:159], v[84:85], s[16:17], v[162:163]
	v_fma_f64 v[162:163], v[74:75], s[18:19], -v[194:195]
	v_add_f64 v[134:135], v[206:207], v[184:185]
	v_add_f64 v[144:145], v[144:145], v[152:153]
	v_fma_f64 v[138:139], v[92:93], s[14:15], v[138:139]
	v_fma_f64 v[168:169], v[82:83], s[20:21], v[180:181]
	v_mul_f64 v[184:185], v[96:97], s[44:45]
	v_add_f64 v[164:165], v[178:179], v[172:173]
	v_fma_f64 v[172:173], v[90:91], s[14:15], -v[190:191]
	v_add_f64 v[25:26], v[182:183], v[25:26]
	v_mul_f64 v[186:187], v[94:95], s[44:45]
	v_mul_f64 v[152:153], v[88:89], s[40:41]
	;; [unrolled: 1-line block ×3, first 2 shown]
	v_add_f64 v[27:28], v[154:155], v[27:28]
	v_add_f64 v[140:141], v[166:167], v[140:141]
	;; [unrolled: 1-line block ×3, first 2 shown]
	v_fma_f64 v[166:167], v[90:91], s[20:21], v[174:175]
	v_fma_f64 v[170:171], v[92:93], s[20:21], -v[176:177]
	v_add_f64 v[146:147], v[156:157], v[146:147]
	v_add_f64 v[23:24], v[188:189], v[23:24]
	v_mul_f64 v[188:189], v[88:89], s[38:39]
	v_fma_f64 v[154:155], v[98:99], s[16:17], -v[198:199]
	v_add_f64 v[150:151], v[158:159], v[150:151]
	v_add_f64 v[148:149], v[162:163], v[148:149]
	v_fma_f64 v[162:163], v[82:83], s[20:21], -v[180:181]
	v_fma_f64 v[156:157], v[100:101], s[16:17], v[204:205]
	v_add_f64 v[138:139], v[138:139], v[144:145]
	v_fma_f64 v[144:145], v[84:85], s[20:21], v[208:209]
	v_mul_f64 v[198:199], v[53:54], s[42:43]
	v_add_f64 v[158:159], v[168:169], v[164:165]
	v_mul_f64 v[164:165], v[47:48], s[48:49]
	v_add_f64 v[25:26], v[172:173], v[25:26]
	v_mul_f64 v[168:169], v[45:46], s[48:49]
	v_mul_f64 v[47:48], v[47:48], s[50:51]
	;; [unrolled: 1-line block ×6, first 2 shown]
	v_add_f64 v[140:141], v[166:167], v[140:141]
	v_add_f64 v[160:161], v[170:171], v[160:161]
	v_fma_f64 v[166:167], v[82:83], s[28:29], v[184:185]
	v_fma_f64 v[170:171], v[84:85], s[28:29], -v[186:187]
	v_fma_f64 v[178:179], v[84:85], s[20:21], -v[208:209]
	v_add_f64 v[27:28], v[154:155], v[27:28]
	v_fma_f64 v[154:155], v[90:91], s[20:21], -v[174:175]
	v_fma_f64 v[172:173], v[74:75], s[6:7], v[152:153]
	v_add_f64 v[142:143], v[142:143], v[150:151]
	v_add_f64 v[146:147], v[156:157], v[146:147]
	v_fma_f64 v[156:157], v[92:93], s[20:21], v[176:177]
	v_add_f64 v[138:139], v[144:145], v[138:139]
	v_fma_f64 v[144:145], v[74:75], s[6:7], -v[152:153]
	v_fma_f64 v[174:175], v[59:60], s[20:21], -v[198:199]
	v_mul_f64 v[176:177], v[108:109], s[62:63]
	v_add_f64 v[25:26], v[162:163], v[25:26]
	v_fma_f64 v[162:163], v[49:50], s[8:9], v[164:165]
	v_fma_f64 v[194:195], v[51:52], s[8:9], -v[168:169]
	v_fma_f64 v[164:165], v[49:50], s[8:9], -v[164:165]
	v_fma_f64 v[168:169], v[51:52], s[8:9], v[168:169]
	v_mul_f64 v[108:109], v[108:109], s[52:53]
	v_fma_f64 v[152:153], v[76:77], s[6:7], v[182:183]
	v_mul_f64 v[150:151], v[78:79], s[34:35]
	v_mul_f64 v[180:181], v[80:81], s[34:35]
	v_add_f64 v[140:141], v[166:167], v[140:141]
	v_add_f64 v[160:161], v[170:171], v[160:161]
	v_fma_f64 v[166:167], v[74:75], s[14:15], v[188:189]
	v_fma_f64 v[170:171], v[76:77], s[14:15], -v[190:191]
	v_add_f64 v[27:28], v[154:155], v[27:28]
	v_add_f64 v[23:24], v[178:179], v[23:24]
	v_fma_f64 v[178:179], v[76:77], s[6:7], -v[182:183]
	v_mul_f64 v[182:183], v[80:81], s[48:49]
	v_add_f64 v[146:147], v[156:157], v[146:147]
	v_mul_f64 v[156:157], v[102:103], s[40:41]
	v_mul_f64 v[102:103], v[102:103], s[34:35]
	v_fma_f64 v[192:193], v[70:71], s[28:29], -v[192:193]
	v_fma_f64 v[154:155], v[98:99], s[18:19], v[176:177]
	v_add_f64 v[144:145], v[144:145], v[25:26]
	v_add_f64 v[128:129], v[162:163], v[128:129]
	;; [unrolled: 1-line block ×3, first 2 shown]
	v_fma_f64 v[162:163], v[57:58], s[20:21], v[196:197]
	v_mul_f64 v[25:26], v[106:107], s[62:63]
	v_add_f64 v[35:36], v[164:165], v[35:36]
	v_add_f64 v[122:123], v[168:169], v[122:123]
	v_fma_f64 v[168:169], v[59:60], s[16:17], -v[53:54]
	v_mul_f64 v[106:107], v[106:107], s[52:53]
	v_fma_f64 v[164:165], v[59:60], s[20:21], v[198:199]
	v_fma_f64 v[53:54], v[59:60], s[16:17], v[53:54]
	v_add_f64 v[140:141], v[166:167], v[140:141]
	v_add_f64 v[160:161], v[170:171], v[160:161]
	v_fma_f64 v[166:167], v[49:50], s[6:7], v[47:48]
	v_fma_f64 v[170:171], v[51:52], s[6:7], -v[45:46]
	v_fma_f64 v[47:48], v[49:50], s[6:7], -v[47:48]
	;; [unrolled: 1-line block ×3, first 2 shown]
	v_fma_f64 v[45:46], v[51:52], s[6:7], v[45:46]
	v_fma_f64 v[51:52], v[51:52], s[28:29], v[118:119]
	v_mul_f64 v[118:119], v[104:105], s[40:41]
	v_mul_f64 v[104:105], v[104:105], s[34:35]
	v_add_f64 v[23:24], v[178:179], v[23:24]
	v_fma_f64 v[178:179], v[72:73], s[18:19], -v[150:151]
	v_add_f64 v[158:159], v[172:173], v[158:159]
	v_add_f64 v[130:131], v[174:175], v[130:131]
	;; [unrolled: 1-line block ×3, first 2 shown]
	v_fma_f64 v[116:117], v[100:101], s[18:19], -v[25:26]
	v_fma_f64 v[162:163], v[57:58], s[20:21], -v[196:197]
	v_fma_f64 v[25:26], v[100:101], s[18:19], v[25:26]
	v_fma_f64 v[172:173], v[70:71], s[18:19], v[180:181]
	v_add_f64 v[138:139], v[152:153], v[138:139]
	v_fma_f64 v[152:153], v[70:71], s[18:19], -v[180:181]
	v_fma_f64 v[180:181], v[70:71], s[8:9], v[182:183]
	v_mul_f64 v[194:195], v[78:79], s[48:49]
	v_fma_f64 v[150:151], v[72:73], s[18:19], v[150:151]
	v_add_f64 v[39:40], v[166:167], v[39:40]
	v_add_f64 v[120:121], v[170:171], v[120:121]
	v_fma_f64 v[166:167], v[57:58], s[16:17], v[55:56]
	v_add_f64 v[29:30], v[49:50], v[29:30]
	v_fma_f64 v[49:50], v[57:58], s[8:9], -v[112:113]
	v_add_f64 v[47:48], v[47:48], v[136:137]
	v_add_f64 v[33:34], v[45:46], v[33:34]
	v_fma_f64 v[45:46], v[57:58], s[16:17], -v[55:56]
	v_add_f64 v[31:32], v[51:52], v[31:32]
	v_fma_f64 v[51:52], v[59:60], s[8:9], v[114:115]
	v_fma_f64 v[112:113], v[92:93], s[6:7], -v[156:157]
	v_fma_f64 v[55:56], v[82:83], s[28:29], -v[184:185]
	v_add_f64 v[114:115], v[164:165], v[122:123]
	v_add_f64 v[57:58], v[116:117], v[130:131]
	;; [unrolled: 1-line block ×3, first 2 shown]
	v_fma_f64 v[116:117], v[98:99], s[18:19], -v[176:177]
	v_fma_f64 v[130:131], v[100:101], s[28:29], -v[106:107]
	v_fma_f64 v[122:123], v[98:99], s[28:29], v[108:109]
	v_fma_f64 v[59:60], v[90:91], s[6:7], v[118:119]
	;; [unrolled: 1-line block ×3, first 2 shown]
	v_add_f64 v[128:129], v[154:155], v[128:129]
	v_add_f64 v[120:121], v[168:169], v[120:121]
	;; [unrolled: 1-line block ×4, first 2 shown]
	v_fma_f64 v[49:50], v[98:99], s[20:21], -v[67:68]
	v_add_f64 v[33:34], v[53:54], v[33:34]
	v_add_f64 v[45:46], v[45:46], v[47:48]
	v_fma_f64 v[47:48], v[98:99], s[28:29], -v[108:109]
	v_fma_f64 v[53:54], v[100:101], s[28:29], v[106:107]
	v_mul_f64 v[106:107], v[94:95], s[38:39]
	v_add_f64 v[31:32], v[51:52], v[31:32]
	v_fma_f64 v[51:52], v[100:101], s[20:21], v[110:111]
	v_add_f64 v[57:58], v[112:113], v[57:58]
	v_fma_f64 v[98:99], v[90:91], s[6:7], -v[118:119]
	v_add_f64 v[35:36], v[116:117], v[35:36]
	v_fma_f64 v[112:113], v[92:93], s[18:19], -v[102:103]
	v_mul_f64 v[94:95], v[94:95], s[48:49]
	v_add_f64 v[27:28], v[55:56], v[27:28]
	v_mul_f64 v[55:56], v[96:97], s[38:39]
	v_add_f64 v[25:26], v[25:26], v[114:115]
	v_fma_f64 v[100:101], v[92:93], s[6:7], v[156:157]
	v_fma_f64 v[110:111], v[90:91], s[18:19], v[104:105]
	v_add_f64 v[108:109], v[130:131], v[120:121]
	v_mul_f64 v[96:97], v[96:97], s[48:49]
	v_add_f64 v[67:68], v[136:137], v[146:147]
	v_add_f64 v[39:40], v[122:123], v[39:40]
	;; [unrolled: 1-line block ×3, first 2 shown]
	v_fma_f64 v[49:50], v[90:91], s[22:23], -v[63:64]
	v_fma_f64 v[63:64], v[74:75], s[14:15], -v[188:189]
	v_add_f64 v[45:46], v[47:48], v[45:46]
	v_add_f64 v[33:34], v[53:54], v[33:34]
	v_fma_f64 v[47:48], v[90:91], s[18:19], -v[104:105]
	v_fma_f64 v[53:54], v[92:93], s[18:19], v[102:103]
	v_fma_f64 v[104:105], v[84:85], s[14:15], -v[106:107]
	v_add_f64 v[31:32], v[51:52], v[31:32]
	v_fma_f64 v[51:52], v[92:93], s[22:23], v[65:66]
	v_mul_f64 v[90:91], v[86:87], s[52:53]
	v_add_f64 v[35:36], v[98:99], v[35:36]
	v_fma_f64 v[92:93], v[84:85], s[14:15], v[106:107]
	v_fma_f64 v[106:107], v[84:85], s[8:9], -v[94:95]
	v_mul_f64 v[86:87], v[86:87], s[30:31]
	v_fma_f64 v[65:66], v[76:77], s[14:15], v[190:191]
	v_add_f64 v[25:26], v[100:101], v[25:26]
	v_add_f64 v[59:60], v[59:60], v[128:129]
	;; [unrolled: 1-line block ×3, first 2 shown]
	v_fma_f64 v[100:101], v[82:83], s[8:9], v[96:97]
	v_fma_f64 v[102:103], v[82:83], s[14:15], v[55:56]
	v_mul_f64 v[114:115], v[88:89], s[52:53]
	v_fma_f64 v[55:56], v[82:83], s[14:15], -v[55:56]
	v_add_f64 v[29:30], v[49:50], v[29:30]
	v_fma_f64 v[49:50], v[84:85], s[18:19], v[61:62]
	v_mul_f64 v[61:62], v[80:81], s[30:31]
	v_mul_f64 v[80:81], v[80:81], s[64:65]
	v_add_f64 v[45:46], v[47:48], v[45:46]
	v_add_f64 v[33:34], v[53:54], v[33:34]
	v_fma_f64 v[47:48], v[82:83], s[8:9], -v[96:97]
	v_fma_f64 v[53:54], v[84:85], s[8:9], v[94:95]
	v_add_f64 v[31:32], v[51:52], v[31:32]
	v_fma_f64 v[51:52], v[76:77], s[28:29], -v[90:91]
	v_fma_f64 v[84:85], v[76:77], s[28:29], v[90:91]
	v_add_f64 v[57:58], v[104:105], v[57:58]
	v_add_f64 v[27:28], v[63:64], v[27:28]
	v_fma_f64 v[96:97], v[76:77], s[22:23], -v[86:87]
	v_add_f64 v[63:64], v[65:66], v[67:68]
	v_add_f64 v[25:26], v[92:93], v[25:26]
	;; [unrolled: 1-line block ×4, first 2 shown]
	v_mul_f64 v[88:89], v[88:89], s[30:31]
	v_add_f64 v[59:60], v[102:103], v[59:60]
	v_fma_f64 v[94:95], v[74:75], s[28:29], v[114:115]
	v_mul_f64 v[82:83], v[78:79], s[30:31]
	v_add_f64 v[29:30], v[43:44], v[29:30]
	v_fma_f64 v[43:44], v[70:71], s[8:9], -v[182:183]
	v_add_f64 v[35:36], v[55:56], v[35:36]
	v_fma_f64 v[55:56], v[74:75], s[28:29], -v[114:115]
	v_mul_f64 v[78:79], v[78:79], s[64:65]
	v_add_f64 v[45:46], v[47:48], v[45:46]
	v_add_f64 v[33:34], v[53:54], v[33:34]
	v_fma_f64 v[53:54], v[76:77], s[22:23], v[86:87]
	v_add_f64 v[31:32], v[49:50], v[31:32]
	v_fma_f64 v[86:87], v[72:73], s[8:9], -v[194:195]
	v_add_f64 v[51:52], v[51:52], v[57:58]
	v_fma_f64 v[57:58], v[70:71], s[22:23], v[61:62]
	v_fma_f64 v[61:62], v[70:71], s[22:23], -v[61:62]
	v_fma_f64 v[49:50], v[72:73], s[8:9], v[194:195]
	v_add_f64 v[67:68], v[84:85], v[25:26]
	v_fma_f64 v[84:85], v[70:71], s[20:21], v[80:81]
	v_add_f64 v[76:77], v[96:97], v[90:91]
	v_fma_f64 v[80:81], v[70:71], s[20:21], -v[80:81]
	v_add_f64 v[39:40], v[100:101], v[39:40]
	v_fma_f64 v[92:93], v[74:75], s[22:23], v[88:89]
	v_fma_f64 v[47:48], v[74:75], s[22:23], -v[88:89]
	v_add_f64 v[96:97], v[41:42], v[29:30]
	s_clause 0x1
	buffer_load_dword v29, off, s[68:71], 0 offset:4
	buffer_load_dword v30, off, s[68:71], 0 offset:8
	v_add_f64 v[59:60], v[94:95], v[59:60]
	v_fma_f64 v[65:66], v[72:73], s[22:23], -v[82:83]
	v_add_f64 v[55:56], v[55:56], v[35:36]
	v_fma_f64 v[88:89], v[72:73], s[20:21], -v[78:79]
	v_fma_f64 v[78:79], v[72:73], s[20:21], v[78:79]
	v_fma_f64 v[82:83], v[72:73], s[22:23], v[82:83]
	;; [unrolled: 1-line block ×3, first 2 shown]
	v_add_f64 v[98:99], v[37:38], v[31:32]
	v_add_f64 v[31:32], v[178:179], v[23:24]
	;; [unrolled: 1-line block ×17, first 2 shown]
	v_mul_u32_u24_e32 v66, 0x770, v0
	v_add_f64 v[27:28], v[94:95], v[142:143]
	v_add_f64 v[53:54], v[84:85], v[74:75]
	;; [unrolled: 1-line block ×4, first 2 shown]
	s_waitcnt vmcnt(0)
	v_fma_f64 v[70:71], v[70:71], s[14:15], -v[29:30]
	s_clause 0x2
	buffer_load_dword v29, off, s[68:71], 0 offset:20
	buffer_load_dword v30, off, s[68:71], 0 offset:24
	buffer_load_dword v23, off, s[68:71], 0
	s_load_dwordx2 s[60:61], s[60:61], 0x0
	v_add_f64 v[62:63], v[70:71], v[96:97]
	s_waitcnt vmcnt(1)
	v_fma_f64 v[72:73], v[72:73], s[14:15], v[29:30]
	v_add_f64 v[29:30], v[172:173], v[158:159]
	s_waitcnt vmcnt(0)
	v_lshlrev_b32_e32 v61, 4, v23
	v_add_f64 v[23:24], v[126:127], v[124:125]
	v_add3_u32 v66, 0, v66, v61
	v_add_f64 v[64:65], v[72:73], v[98:99]
	ds_write_b128 v66, v[5:8]
	ds_write_b128 v66, v[1:4] offset:112
	ds_write_b128 v66, v[9:12] offset:224
	;; [unrolled: 1-line block ×16, first 2 shown]
	s_waitcnt lgkmcnt(0)
	s_waitcnt_vscnt null, 0x0
	s_barrier
	buffer_gl0_inv
	s_and_saveexec_b32 s33, s25
	s_cbranch_execz .LBB0_16
; %bb.15:
	v_mul_lo_u16 v1, v0, 31
	v_mov_b32_e32 v68, 4
	v_lshrrev_b16 v1, 9, v1
	v_mul_lo_u16 v1, v1, 17
	v_sub_nc_u16 v1, v0, v1
	v_mul_u32_u24_e32 v0, 0x70, v0
	v_and_b32_e32 v79, 0xff, v1
	v_add3_u32 v61, 0, v0, v61
	v_lshlrev_b32_e32 v62, 8, v79
	v_mul_lo_u32 v66, v69, v79
	v_add_nc_u32_e32 v67, 0x110, v79
	s_clause 0xf
	global_load_dwordx4 v[5:8], v62, s[26:27] offset:112
	global_load_dwordx4 v[33:36], v62, s[26:27] offset:128
	;; [unrolled: 1-line block ×10, first 2 shown]
	global_load_dwordx4 v[41:44], v62, s[26:27]
	global_load_dwordx4 v[45:48], v62, s[26:27] offset:240
	global_load_dwordx4 v[49:52], v62, s[26:27] offset:16
	;; [unrolled: 1-line block ×5, first 2 shown]
	v_mul_lo_u32 v67, v69, v67
	v_bfe_u32 v70, v66, 8, 8
	v_lshlrev_b32_sdwa v66, v68, v66 dst_sel:DWORD dst_unused:UNUSED_PAD src0_sel:DWORD src1_sel:BYTE_0
	v_lshl_or_b32 v74, v70, 4, 0x1000
	v_bfe_u32 v78, v67, 8, 8
	s_clause 0x1
	global_load_dwordx4 v[70:73], v66, s[12:13]
	global_load_dwordx4 v[74:77], v74, s[12:13]
	v_lshlrev_b32_sdwa v66, v68, v67 dst_sel:DWORD dst_unused:UNUSED_PAD src0_sel:DWORD src1_sel:BYTE_0
	v_lshl_or_b32 v67, v78, 4, 0x1000
	v_add_nc_u32_e32 v78, 0xff, v79
	s_clause 0x1
	global_load_dwordx4 v[80:83], v66, s[12:13]
	global_load_dwordx4 v[84:87], v67, s[12:13]
	v_mul_lo_u32 v66, v69, v78
	v_bfe_u32 v67, v66, 8, 8
	v_lshlrev_b32_sdwa v66, v68, v66 dst_sel:DWORD dst_unused:UNUSED_PAD src0_sel:DWORD src1_sel:BYTE_0
	v_lshl_or_b32 v67, v67, 4, 0x1000
	s_clause 0x1
	global_load_dwordx4 v[88:91], v66, s[12:13]
	global_load_dwordx4 v[128:131], v67, s[12:13]
	ds_read_b128 v[92:95], v61 offset:15232
	ds_read_b128 v[96:99], v61 offset:17136
	;; [unrolled: 1-line block ×5, first 2 shown]
	s_waitcnt vmcnt(21) lgkmcnt(4)
	v_mul_f64 v[66:67], v[94:95], v[7:8]
	v_mul_f64 v[7:8], v[92:93], v[7:8]
	s_waitcnt vmcnt(20) lgkmcnt(3)
	v_mul_f64 v[112:113], v[98:99], v[35:36]
	v_mul_f64 v[35:36], v[96:97], v[35:36]
	v_fma_f64 v[116:117], v[92:93], v[5:6], v[66:67]
	s_waitcnt vmcnt(19) lgkmcnt(2)
	v_mul_f64 v[66:67], v[102:103], v[31:32]
	v_mul_f64 v[31:32], v[100:101], v[31:32]
	v_fma_f64 v[114:115], v[94:95], v[5:6], -v[7:8]
	ds_read_b128 v[5:8], v61 offset:20944
	v_fma_f64 v[118:119], v[96:97], v[33:34], v[112:113]
	v_fma_f64 v[112:113], v[98:99], v[33:34], -v[35:36]
	s_waitcnt vmcnt(18) lgkmcnt(2)
	v_mul_f64 v[33:34], v[106:107], v[27:28]
	v_mul_f64 v[35:36], v[104:105], v[27:28]
	s_waitcnt vmcnt(17) lgkmcnt(1)
	v_mul_f64 v[96:97], v[110:111], v[23:24]
	v_mul_f64 v[98:99], v[108:109], v[23:24]
	v_fma_f64 v[122:123], v[100:101], v[29:30], v[66:67]
	v_fma_f64 v[120:121], v[102:103], v[29:30], -v[31:32]
	ds_read_b128 v[27:30], v61 offset:9520
	s_waitcnt vmcnt(16) lgkmcnt(1)
	v_mul_f64 v[66:67], v[5:6], v[19:20]
	v_mul_f64 v[31:32], v[7:8], v[19:20]
	v_fma_f64 v[102:103], v[104:105], v[25:26], v[33:34]
	v_fma_f64 v[100:101], v[106:107], v[25:26], -v[35:36]
	ds_read_b128 v[23:26], v61 offset:22848
	ds_read_b128 v[92:95], v61 offset:7616
	v_fma_f64 v[108:109], v[108:109], v[21:22], v[96:97]
	v_fma_f64 v[106:107], v[110:111], v[21:22], -v[98:99]
	ds_read_b128 v[19:22], v61 offset:24752
	s_waitcnt vmcnt(15) lgkmcnt(3)
	v_mul_f64 v[33:34], v[29:30], v[15:16]
	v_mul_f64 v[15:16], v[27:28], v[15:16]
	v_fma_f64 v[66:67], v[7:8], v[17:18], -v[66:67]
	v_fma_f64 v[98:99], v[5:6], v[17:18], v[31:32]
	s_waitcnt vmcnt(14) lgkmcnt(2)
	v_mul_f64 v[7:8], v[25:26], v[11:12]
	v_mul_f64 v[11:12], v[23:24], v[11:12]
	s_waitcnt vmcnt(13) lgkmcnt(1)
	v_mul_f64 v[17:18], v[94:95], v[3:4]
	v_mul_f64 v[31:32], v[92:93], v[3:4]
	ds_read_b128 v[3:6], v61 offset:1904
	v_fma_f64 v[124:125], v[27:28], v[13:14], v[33:34]
	v_fma_f64 v[110:111], v[29:30], v[13:14], -v[15:16]
	s_waitcnt vmcnt(12) lgkmcnt(1)
	v_mul_f64 v[15:16], v[21:22], v[39:40]
	v_mul_f64 v[27:28], v[19:20], v[39:40]
	s_waitcnt vmcnt(0)
	v_mul_f64 v[29:30], v[90:91], v[130:131]
	v_fma_f64 v[104:105], v[23:24], v[9:10], v[7:8]
	v_fma_f64 v[96:97], v[25:26], v[9:10], -v[11:12]
	ds_read_b128 v[7:10], v61 offset:30464
	ds_read_b128 v[33:36], v61
	v_fma_f64 v[136:137], v[92:93], v[1:2], v[17:18]
	v_fma_f64 v[132:133], v[94:95], v[1:2], -v[31:32]
	s_waitcnt lgkmcnt(2)
	v_mul_f64 v[0:1], v[5:6], v[43:44]
	v_mul_f64 v[23:24], v[3:4], v[43:44]
	ds_read_b128 v[11:14], v61 offset:3808
	v_mul_f64 v[31:32], v[88:89], v[130:131]
	v_fma_f64 v[94:95], v[19:20], v[37:38], v[15:16]
	v_fma_f64 v[92:93], v[21:22], v[37:38], -v[27:28]
	s_waitcnt lgkmcnt(2)
	v_mul_f64 v[19:20], v[9:10], v[47:48]
	v_mul_f64 v[21:22], v[7:8], v[47:48]
	ds_read_b128 v[15:18], v61 offset:28560
	v_mul_f64 v[27:28], v[80:81], v[86:87]
	v_fma_f64 v[184:185], v[3:4], v[41:42], v[0:1]
	v_fma_f64 v[222:223], v[5:6], v[41:42], -v[23:24]
	ds_read_b128 v[0:3], v61 offset:5712
	s_waitcnt lgkmcnt(2)
	v_mul_f64 v[23:24], v[13:14], v[51:52]
	v_mul_f64 v[25:26], v[11:12], v[51:52]
	v_fma_f64 v[41:42], v[88:89], v[128:129], -v[29:30]
	v_fma_f64 v[43:44], v[90:91], v[128:129], v[31:32]
	v_fma_f64 v[39:40], v[7:8], v[45:46], v[19:20]
	ds_read_b128 v[4:7], v61 offset:26656
	v_fma_f64 v[37:38], v[9:10], v[45:46], -v[21:22]
	s_waitcnt lgkmcnt(2)
	v_mul_f64 v[8:9], v[17:18], v[55:56]
	v_mul_f64 v[19:20], v[15:16], v[55:56]
	v_add_nc_u32_e32 v21, 0xee, v79
	v_fma_f64 v[138:139], v[11:12], v[49:50], v[23:24]
	v_fma_f64 v[134:135], v[13:14], v[49:50], -v[25:26]
	v_mul_lo_u32 v14, v69, v21
	s_waitcnt lgkmcnt(1)
	v_mul_f64 v[12:13], v[0:1], v[59:60]
	v_mul_f64 v[10:11], v[2:3], v[59:60]
	v_fma_f64 v[59:60], v[82:83], v[84:85], v[27:28]
	v_bfe_u32 v25, v14, 8, 8
	s_waitcnt lgkmcnt(0)
	v_mul_f64 v[21:22], v[6:7], v[64:65]
	v_mul_f64 v[23:24], v[4:5], v[64:65]
	v_fma_f64 v[126:127], v[15:16], v[53:54], v[8:9]
	v_fma_f64 v[64:65], v[17:18], v[53:54], -v[19:20]
	v_mul_f64 v[16:17], v[70:71], v[76:77]
	v_add_nc_u32_e32 v15, 0xdd, v79
	v_mul_f64 v[18:19], v[72:73], v[76:77]
	v_lshlrev_b32_sdwa v8, v68, v14 dst_sel:DWORD dst_unused:UNUSED_PAD src0_sel:DWORD src1_sel:BYTE_0
	v_lshl_or_b32 v9, v25, 4, 0x1000
	v_add_nc_u32_e32 v20, 0xcc, v79
	v_mul_f64 v[25:26], v[82:83], v[86:87]
	v_fma_f64 v[140:141], v[2:3], v[57:58], -v[12:13]
	v_mul_lo_u32 v12, v69, v15
	v_fma_f64 v[142:143], v[0:1], v[57:58], v[10:11]
	s_clause 0x1
	global_load_dwordx4 v[0:3], v8, s[12:13]
	global_load_dwordx4 v[8:11], v9, s[12:13]
	v_mul_lo_u32 v20, v69, v20
	v_fma_f64 v[76:77], v[4:5], v[62:63], v[21:22]
	v_bfe_u32 v4, v12, 8, 8
	v_lshlrev_b32_sdwa v5, v68, v12 dst_sel:DWORD dst_unused:UNUSED_PAD src0_sel:DWORD src1_sel:BYTE_0
	v_fma_f64 v[61:62], v[6:7], v[62:63], -v[23:24]
	v_bfe_u32 v21, v20, 8, 8
	v_add_nc_u32_e32 v24, 0xbb, v79
	v_fma_f64 v[16:17], v[72:73], v[74:75], v[16:17]
	v_lshl_or_b32 v12, v4, 4, 0x1000
	s_clause 0x1
	global_load_dwordx4 v[4:7], v5, s[12:13]
	global_load_dwordx4 v[12:15], v12, s[12:13]
	v_mul_lo_u32 v24, v69, v24
	v_fma_f64 v[57:58], v[80:81], v[84:85], -v[25:26]
	buffer_store_dword v16, off, s[68:71], 0 offset:104 ; 4-byte Folded Spill
	buffer_store_dword v17, off, s[68:71], 0 offset:108 ; 4-byte Folded Spill
	v_fma_f64 v[16:17], v[70:71], v[74:75], -v[18:19]
	v_bfe_u32 v25, v24, 8, 8
	v_lshlrev_b32_sdwa v24, v68, v24 dst_sel:DWORD dst_unused:UNUSED_PAD src0_sel:DWORD src1_sel:BYTE_0
	buffer_store_dword v16, off, s[68:71], 0 offset:96 ; 4-byte Folded Spill
	buffer_store_dword v17, off, s[68:71], 0 offset:100 ; 4-byte Folded Spill
	v_lshlrev_b32_sdwa v16, v68, v20 dst_sel:DWORD dst_unused:UNUSED_PAD src0_sel:DWORD src1_sel:BYTE_0
	v_lshl_or_b32 v20, v21, 4, 0x1000
	s_clause 0x1
	global_load_dwordx4 v[16:19], v16, s[12:13]
	global_load_dwordx4 v[20:23], v20, s[12:13]
	v_lshl_or_b32 v28, v25, 4, 0x1000
	s_clause 0x1
	global_load_dwordx4 v[24:27], v24, s[12:13]
	global_load_dwordx4 v[28:31], v28, s[12:13]
	s_waitcnt vmcnt(6)
	v_mul_f64 v[45:46], v[2:3], v[10:11]
	v_mul_f64 v[10:11], v[0:1], v[10:11]
	s_waitcnt vmcnt(4)
	v_mul_f64 v[47:48], v[6:7], v[14:15]
	v_fma_f64 v[45:46], v[0:1], v[8:9], -v[45:46]
	v_mul_f64 v[0:1], v[4:5], v[14:15]
	v_fma_f64 v[49:50], v[2:3], v[8:9], v[10:11]
	v_add_nc_u32_e32 v10, 0xaa, v79
	v_add_nc_u32_e32 v14, 0x99, v79
	v_mul_lo_u32 v10, v69, v10
	v_bfe_u32 v11, v10, 8, 8
	v_fma_f64 v[55:56], v[4:5], v[12:13], -v[47:48]
	v_lshl_or_b32 v4, v11, 4, 0x1000
	v_fma_f64 v[47:48], v[6:7], v[12:13], v[0:1]
	v_lshlrev_b32_sdwa v0, v68, v10 dst_sel:DWORD dst_unused:UNUSED_PAD src0_sel:DWORD src1_sel:BYTE_0
	s_waitcnt vmcnt(2)
	v_mul_f64 v[2:3], v[18:19], v[22:23]
	v_mul_f64 v[8:9], v[16:17], v[22:23]
	s_waitcnt vmcnt(0)
	v_mul_f64 v[10:11], v[26:27], v[30:31]
	v_mul_f64 v[12:13], v[24:25], v[30:31]
	v_fma_f64 v[192:193], v[16:17], v[20:21], -v[2:3]
	s_clause 0x1
	global_load_dwordx4 v[0:3], v0, s[12:13]
	global_load_dwordx4 v[4:7], v4, s[12:13]
	v_fma_f64 v[146:147], v[18:19], v[20:21], v[8:9]
	v_mul_lo_u32 v8, v69, v14
	v_fma_f64 v[128:129], v[24:25], v[28:29], -v[10:11]
	v_fma_f64 v[130:131], v[26:27], v[28:29], v[12:13]
	v_bfe_u32 v9, v8, 8, 8
	v_lshlrev_b32_sdwa v8, v68, v8 dst_sel:DWORD dst_unused:UNUSED_PAD src0_sel:DWORD src1_sel:BYTE_0
	v_lshl_or_b32 v14, v9, 4, 0x1000
	s_clause 0x1
	global_load_dwordx4 v[8:11], v8, s[12:13]
	global_load_dwordx4 v[12:15], v14, s[12:13]
	s_waitcnt vmcnt(2)
	v_mul_f64 v[20:21], v[2:3], v[6:7]
	v_mul_f64 v[6:7], v[0:1], v[6:7]
	s_waitcnt vmcnt(0)
	v_mul_f64 v[24:25], v[10:11], v[14:15]
	v_fma_f64 v[53:54], v[0:1], v[4:5], -v[20:21]
	v_fma_f64 v[51:52], v[2:3], v[4:5], v[6:7]
	v_mul_f64 v[0:1], v[8:9], v[14:15]
	v_add_nc_u32_e32 v2, 0x88, v79
	v_mul_lo_u32 v2, v69, v2
	v_bfe_u32 v3, v2, 8, 8
	v_lshlrev_b32_sdwa v2, v68, v2 dst_sel:DWORD dst_unused:UNUSED_PAD src0_sel:DWORD src1_sel:BYTE_0
	v_fma_f64 v[80:81], v[8:9], v[12:13], -v[24:25]
	v_lshl_or_b32 v4, v3, 4, 0x1000
	v_fma_f64 v[82:83], v[10:11], v[12:13], v[0:1]
	s_clause 0x1
	global_load_dwordx4 v[0:3], v2, s[12:13]
	global_load_dwordx4 v[4:7], v4, s[12:13]
	v_add_nc_u32_e32 v10, 0x77, v79
	v_mul_lo_u32 v10, v69, v10
	v_bfe_u32 v11, v10, 8, 8
	v_lshlrev_b32_sdwa v10, v68, v10 dst_sel:DWORD dst_unused:UNUSED_PAD src0_sel:DWORD src1_sel:BYTE_0
	v_lshl_or_b32 v11, v11, 4, 0x1000
	s_waitcnt vmcnt(0)
	v_mul_f64 v[8:9], v[2:3], v[6:7]
	v_mul_f64 v[6:7], v[0:1], v[6:7]
	v_fma_f64 v[0:1], v[0:1], v[4:5], -v[8:9]
	buffer_store_dword v0, off, s[68:71], 0 offset:176 ; 4-byte Folded Spill
	buffer_store_dword v1, off, s[68:71], 0 offset:180 ; 4-byte Folded Spill
	v_fma_f64 v[0:1], v[2:3], v[4:5], v[6:7]
	buffer_store_dword v0, off, s[68:71], 0 offset:200 ; 4-byte Folded Spill
	buffer_store_dword v1, off, s[68:71], 0 offset:204 ; 4-byte Folded Spill
	s_clause 0x1
	global_load_dwordx4 v[0:3], v10, s[12:13]
	global_load_dwordx4 v[4:7], v11, s[12:13]
	s_waitcnt vmcnt(0)
	v_mul_f64 v[8:9], v[2:3], v[6:7]
	v_fma_f64 v[8:9], v[0:1], v[4:5], -v[8:9]
	v_mul_f64 v[0:1], v[0:1], v[6:7]
	buffer_store_dword v8, off, s[68:71], 0 offset:128 ; 4-byte Folded Spill
	buffer_store_dword v9, off, s[68:71], 0 offset:132 ; 4-byte Folded Spill
	v_fma_f64 v[0:1], v[2:3], v[4:5], v[0:1]
	buffer_store_dword v0, off, s[68:71], 0 offset:216 ; 4-byte Folded Spill
	buffer_store_dword v1, off, s[68:71], 0 offset:220 ; 4-byte Folded Spill
	v_add_nc_u32_e32 v0, 0x66, v79
	v_mul_lo_u32 v0, v69, v0
	v_bfe_u32 v1, v0, 8, 8
	v_lshlrev_b32_sdwa v0, v68, v0 dst_sel:DWORD dst_unused:UNUSED_PAD src0_sel:DWORD src1_sel:BYTE_0
	v_lshl_or_b32 v4, v1, 4, 0x1000
	s_clause 0x1
	global_load_dwordx4 v[0:3], v0, s[12:13]
	global_load_dwordx4 v[4:7], v4, s[12:13]
	s_waitcnt vmcnt(0)
	v_mul_f64 v[8:9], v[2:3], v[6:7]
	v_fma_f64 v[8:9], v[0:1], v[4:5], -v[8:9]
	v_mul_f64 v[0:1], v[0:1], v[6:7]
	buffer_store_dword v8, off, s[68:71], 0 offset:136 ; 4-byte Folded Spill
	buffer_store_dword v9, off, s[68:71], 0 offset:140 ; 4-byte Folded Spill
	v_fma_f64 v[0:1], v[2:3], v[4:5], v[0:1]
	buffer_store_dword v0, off, s[68:71], 0 offset:224 ; 4-byte Folded Spill
	buffer_store_dword v1, off, s[68:71], 0 offset:228 ; 4-byte Folded Spill
	v_add_nc_u32_e32 v0, 0x55, v79
	v_mul_lo_u32 v0, v69, v0
	v_bfe_u32 v1, v0, 8, 8
	v_lshlrev_b32_sdwa v0, v68, v0 dst_sel:DWORD dst_unused:UNUSED_PAD src0_sel:DWORD src1_sel:BYTE_0
	v_lshl_or_b32 v4, v1, 4, 0x1000
	s_clause 0x1
	global_load_dwordx4 v[0:3], v0, s[12:13]
	global_load_dwordx4 v[4:7], v4, s[12:13]
	s_waitcnt vmcnt(0)
	v_mul_f64 v[8:9], v[0:1], v[6:7]
	v_fma_f64 v[8:9], v[2:3], v[4:5], v[8:9]
	v_mul_f64 v[2:3], v[2:3], v[6:7]
	buffer_store_dword v8, off, s[68:71], 0 offset:232 ; 4-byte Folded Spill
	buffer_store_dword v9, off, s[68:71], 0 offset:236 ; 4-byte Folded Spill
	v_fma_f64 v[0:1], v[0:1], v[4:5], -v[2:3]
	buffer_store_dword v0, off, s[68:71], 0 offset:144 ; 4-byte Folded Spill
	buffer_store_dword v1, off, s[68:71], 0 offset:148 ; 4-byte Folded Spill
	v_add_nc_u32_e32 v0, 0x44, v79
	v_mul_lo_u32 v0, v69, v0
	v_bfe_u32 v1, v0, 8, 8
	v_lshlrev_b32_sdwa v0, v68, v0 dst_sel:DWORD dst_unused:UNUSED_PAD src0_sel:DWORD src1_sel:BYTE_0
	v_lshl_or_b32 v4, v1, 4, 0x1000
	s_clause 0x1
	global_load_dwordx4 v[0:3], v0, s[12:13]
	global_load_dwordx4 v[4:7], v4, s[12:13]
	s_waitcnt vmcnt(0)
	v_mul_f64 v[8:9], v[0:1], v[6:7]
	v_fma_f64 v[8:9], v[2:3], v[4:5], v[8:9]
	v_mul_f64 v[2:3], v[2:3], v[6:7]
	buffer_store_dword v8, off, s[68:71], 0 offset:240 ; 4-byte Folded Spill
	buffer_store_dword v9, off, s[68:71], 0 offset:244 ; 4-byte Folded Spill
	v_fma_f64 v[0:1], v[0:1], v[4:5], -v[2:3]
	;; [unrolled: 17-line block ×4, first 2 shown]
	buffer_store_dword v0, off, s[68:71], 0 offset:168 ; 4-byte Folded Spill
	buffer_store_dword v1, off, s[68:71], 0 offset:172 ; 4-byte Folded Spill
	v_add_nc_u32_e32 v0, 17, v79
	v_mul_lo_u32 v0, v69, v0
	v_lshlrev_b32_sdwa v1, v68, v0 dst_sel:DWORD dst_unused:UNUSED_PAD src0_sel:DWORD src1_sel:BYTE_0
	v_bfe_u32 v0, v0, 8, 8
	v_lshl_or_b32 v4, v0, 4, 0x1000
	s_clause 0x1
	global_load_dwordx4 v[0:3], v1, s[12:13]
	global_load_dwordx4 v[4:7], v4, s[12:13]
	s_waitcnt vmcnt(0)
	v_mul_f64 v[8:9], v[0:1], v[6:7]
	v_fma_f64 v[8:9], v[2:3], v[4:5], v[8:9]
	v_mul_f64 v[2:3], v[2:3], v[6:7]
	buffer_store_dword v8, off, s[68:71], 0 offset:184 ; 4-byte Folded Spill
	buffer_store_dword v9, off, s[68:71], 0 offset:188 ; 4-byte Folded Spill
	v_fma_f64 v[0:1], v[0:1], v[4:5], -v[2:3]
	buffer_store_dword v0, off, s[68:71], 0 offset:88 ; 4-byte Folded Spill
	buffer_store_dword v1, off, s[68:71], 0 offset:92 ; 4-byte Folded Spill
	v_mov_b32_e32 v4, v39
	v_mov_b32_e32 v0, v37
	;; [unrolled: 1-line block ×6, first 2 shown]
	buffer_store_dword v4, off, s[68:71], 0 offset:256 ; 4-byte Folded Spill
	buffer_store_dword v5, off, s[68:71], 0 offset:260 ; 4-byte Folded Spill
	;; [unrolled: 1-line block ×12, first 2 shown]
	v_add_f64 v[39:40], v[184:185], -v[4:5]
	v_add_f64 v[250:251], v[222:223], v[0:1]
	v_add_f64 v[37:38], v[138:139], -v[126:127]
	v_add_f64 v[30:31], v[222:223], -v[0:1]
	;; [unrolled: 1-line block ×3, first 2 shown]
	v_add_f64 v[254:255], v[184:185], v[4:5]
	v_mov_b32_e32 v4, v142
	v_mov_b32_e32 v5, v143
	v_add_f64 v[144:145], v[138:139], v[126:127]
	v_add_f64 v[134:135], v[8:9], v[64:65]
	v_mul_f64 v[252:253], v[39:40], s[40:41]
	v_mul_f64 v[86:87], v[39:40], s[46:47]
	;; [unrolled: 1-line block ×3, first 2 shown]
	buffer_store_dword v6, off, s[68:71], 0 offset:304 ; 4-byte Folded Spill
	buffer_store_dword v7, off, s[68:71], 0 offset:308 ; 4-byte Folded Spill
	v_mul_f64 v[0:1], v[28:29], s[44:45]
	buffer_store_dword v0, off, s[68:71], 0 offset:320 ; 4-byte Folded Spill
	buffer_store_dword v1, off, s[68:71], 0 offset:324 ; 4-byte Folded Spill
	;; [unrolled: 1-line block ×10, first 2 shown]
	v_fma_f64 v[2:3], v[250:251], s[6:7], v[252:253]
	v_mul_f64 v[178:179], v[30:31], s[40:41]
	v_mul_f64 v[88:89], v[30:31], s[44:45]
	;; [unrolled: 1-line block ×6, first 2 shown]
	v_add_f64 v[2:3], v[35:36], v[2:3]
	v_fma_f64 v[6:7], v[134:135], s[28:29], v[6:7]
	v_add_f64 v[2:3], v[6:7], v[2:3]
	v_fma_f64 v[12:13], v[144:145], s[28:29], -v[0:1]
	v_fma_f64 v[6:7], v[254:255], s[6:7], -v[178:179]
	v_add_f64 v[26:27], v[4:5], -v[76:77]
	v_add_f64 v[142:143], v[140:141], v[61:62]
	v_add_f64 v[22:23], v[140:141], -v[61:62]
	v_add_f64 v[156:157], v[4:5], v[76:77]
	v_mul_f64 v[75:76], v[37:38], s[54:55]
	v_add_f64 v[6:7], v[33:34], v[6:7]
	v_mul_f64 v[0:1], v[26:27], s[46:47]
	buffer_store_dword v0, off, s[68:71], 0 offset:328 ; 4-byte Folded Spill
	buffer_store_dword v1, off, s[68:71], 0 offset:332 ; 4-byte Folded Spill
	v_add_f64 v[6:7], v[12:13], v[6:7]
	v_mul_f64 v[230:231], v[26:27], s[58:59]
	v_mul_f64 v[226:227], v[22:23], s[58:59]
	;; [unrolled: 1-line block ×6, first 2 shown]
	v_fma_f64 v[12:13], v[142:143], s[8:9], v[0:1]
	v_mul_f64 v[0:1], v[22:23], s[46:47]
	buffer_store_dword v0, off, s[68:71], 0 offset:360 ; 4-byte Folded Spill
	buffer_store_dword v1, off, s[68:71], 0 offset:364 ; 4-byte Folded Spill
	;; [unrolled: 1-line block ×6, first 2 shown]
	v_add_f64 v[2:3], v[12:13], v[2:3]
	buffer_store_dword v92, off, s[68:71], 0 offset:296 ; 4-byte Folded Spill
	buffer_store_dword v93, off, s[68:71], 0 offset:300 ; 4-byte Folded Spill
	;; [unrolled: 1-line block ×4, first 2 shown]
	v_fma_f64 v[12:13], v[156:157], s[8:9], -v[0:1]
	v_add_f64 v[20:21], v[136:137], -v[94:95]
	v_add_f64 v[164:165], v[136:137], v[94:95]
	v_add_f64 v[150:151], v[132:133], v[92:93]
	v_add_f64 v[180:181], v[132:133], -v[92:93]
	v_add_f64 v[6:7], v[12:13], v[6:7]
	v_mul_f64 v[0:1], v[20:21], s[42:43]
	buffer_store_dword v0, off, s[68:71], 0 offset:344 ; 4-byte Folded Spill
	buffer_store_dword v1, off, s[68:71], 0 offset:348 ; 4-byte Folded Spill
	v_mul_f64 v[234:235], v[20:21], s[54:55]
	v_mul_f64 v[228:229], v[180:181], s[54:55]
	;; [unrolled: 1-line block ×5, first 2 shown]
	v_fma_f64 v[12:13], v[150:151], s[20:21], v[0:1]
	v_mul_f64 v[0:1], v[180:181], s[42:43]
	buffer_store_dword v0, off, s[68:71], 0 offset:376 ; 4-byte Folded Spill
	buffer_store_dword v1, off, s[68:71], 0 offset:380 ; 4-byte Folded Spill
	;; [unrolled: 1-line block ×6, first 2 shown]
	v_add_f64 v[2:3], v[12:13], v[2:3]
	buffer_store_dword v96, off, s[68:71], 0 offset:336 ; 4-byte Folded Spill
	buffer_store_dword v97, off, s[68:71], 0 offset:340 ; 4-byte Folded Spill
	;; [unrolled: 1-line block ×4, first 2 shown]
	v_fma_f64 v[12:13], v[164:165], s[20:21], -v[0:1]
	v_add_f64 v[18:19], v[124:125], -v[104:105]
	v_add_f64 v[176:177], v[124:125], v[104:105]
	v_add_f64 v[154:155], v[110:111], v[96:97]
	v_add_f64 v[24:25], v[110:111], -v[96:97]
	v_mul_f64 v[110:111], v[180:181], s[46:47]
	v_add_f64 v[6:7], v[12:13], v[6:7]
	v_mul_f64 v[0:1], v[18:19], s[30:31]
	buffer_store_dword v0, off, s[68:71], 0 offset:352 ; 4-byte Folded Spill
	buffer_store_dword v1, off, s[68:71], 0 offset:356 ; 4-byte Folded Spill
	v_mul_f64 v[244:245], v[18:19], s[52:53]
	v_mul_f64 v[232:233], v[24:25], s[52:53]
	;; [unrolled: 1-line block ×7, first 2 shown]
	v_fma_f64 v[12:13], v[154:155], s[22:23], v[0:1]
	v_mul_f64 v[0:1], v[24:25], s[30:31]
	buffer_store_dword v0, off, s[68:71], 0 offset:400 ; 4-byte Folded Spill
	buffer_store_dword v1, off, s[68:71], 0 offset:404 ; 4-byte Folded Spill
	;; [unrolled: 1-line block ×10, first 2 shown]
	v_add_f64 v[2:3], v[12:13], v[2:3]
	v_fma_f64 v[12:13], v[176:177], s[22:23], -v[0:1]
	v_add_f64 v[14:15], v[108:109], -v[98:99]
	v_add_f64 v[16:17], v[106:107], -v[66:67]
	v_add_f64 v[162:163], v[106:107], v[66:67]
	v_add_f64 v[182:183], v[108:109], v[98:99]
	v_mul_f64 v[106:107], v[26:27], s[52:53]
	v_mul_f64 v[108:109], v[24:25], s[38:39]
	v_add_f64 v[6:7], v[12:13], v[6:7]
	v_mul_f64 v[12:13], v[14:15], s[34:35]
	v_mul_f64 v[0:1], v[16:17], s[34:35]
	buffer_store_dword v12, off, s[68:71], 0 offset:368 ; 4-byte Folded Spill
	buffer_store_dword v13, off, s[68:71], 0 offset:372 ; 4-byte Folded Spill
	;; [unrolled: 1-line block ×12, first 2 shown]
	v_mul_f64 v[248:249], v[14:15], s[40:41]
	v_mul_f64 v[236:237], v[16:17], s[40:41]
	;; [unrolled: 1-line block ×6, first 2 shown]
	v_fma_f64 v[12:13], v[162:163], s[18:19], v[12:13]
	v_add_f64 v[8:9], v[122:123], -v[102:103]
	v_add_f64 v[172:173], v[120:121], v[100:101]
	v_add_f64 v[186:187], v[122:123], v[102:103]
	v_mul_f64 v[122:123], v[39:40], s[42:43]
	v_mul_f64 v[102:103], v[20:21], s[46:47]
	v_add_f64 v[2:3], v[12:13], v[2:3]
	v_fma_f64 v[12:13], v[182:183], s[18:19], -v[0:1]
	v_mul_f64 v[10:11], v[8:9], s[36:37]
	buffer_store_dword v10, off, s[68:71], 0 offset:392 ; 4-byte Folded Spill
	buffer_store_dword v11, off, s[68:71], 0 offset:396 ; 4-byte Folded Spill
	v_add_f64 v[6:7], v[12:13], v[6:7]
	v_mul_f64 v[238:239], v[8:9], s[42:43]
	v_mul_f64 v[138:139], v[8:9], s[62:63]
	v_mul_f64 v[90:91], v[8:9], s[40:41]
	v_fma_f64 v[12:13], v[172:173], s[16:17], v[10:11]
	v_add_f64 v[10:11], v[120:121], -v[100:101]
	v_mul_f64 v[120:121], v[14:15], s[36:37]
	v_add_f64 v[2:3], v[12:13], v[2:3]
	v_mul_f64 v[0:1], v[10:11], s[36:37]
	buffer_store_dword v0, off, s[68:71], 0 offset:424 ; 4-byte Folded Spill
	buffer_store_dword v1, off, s[68:71], 0 offset:428 ; 4-byte Folded Spill
	buffer_store_dword v112, off, s[68:71], 0 offset:560 ; 4-byte Folded Spill
	buffer_store_dword v113, off, s[68:71], 0 offset:564 ; 4-byte Folded Spill
	buffer_store_dword v114, off, s[68:71], 0 offset:584 ; 4-byte Folded Spill
	buffer_store_dword v115, off, s[68:71], 0 offset:588 ; 4-byte Folded Spill
	buffer_store_dword v116, off, s[68:71], 0 offset:592 ; 4-byte Folded Spill
	buffer_store_dword v117, off, s[68:71], 0 offset:596 ; 4-byte Folded Spill
	buffer_store_dword v118, off, s[68:71], 0 offset:576 ; 4-byte Folded Spill
	buffer_store_dword v119, off, s[68:71], 0 offset:580 ; 4-byte Folded Spill
	v_mul_f64 v[240:241], v[10:11], s[42:43]
	v_mul_f64 v[136:137], v[10:11], s[62:63]
	;; [unrolled: 1-line block ×4, first 2 shown]
	v_fma_f64 v[12:13], v[186:187], s[16:17], -v[0:1]
	v_add_f64 v[4:5], v[114:115], -v[112:113]
	v_add_f64 v[168:169], v[116:117], v[118:119]
	v_add_f64 v[188:189], v[114:115], v[112:113]
	v_mul_f64 v[112:113], v[37:38], s[56:57]
	v_mul_f64 v[114:115], v[22:23], s[52:53]
	v_add_f64 v[6:7], v[12:13], v[6:7]
	v_mul_f64 v[0:1], v[4:5], s[38:39]
	buffer_store_dword v0, off, s[68:71], 0 offset:384 ; 4-byte Folded Spill
	buffer_store_dword v1, off, s[68:71], 0 offset:388 ; 4-byte Folded Spill
	v_mul_f64 v[246:247], v[4:5], s[36:37]
	v_mul_f64 v[126:127], v[4:5], s[52:53]
	;; [unrolled: 1-line block ×3, first 2 shown]
	v_fma_f64 v[12:13], v[168:169], s[14:15], -v[0:1]
	v_add_f64 v[0:1], v[116:117], -v[118:119]
	v_mul_f64 v[118:119], v[39:40], s[44:45]
	v_mul_f64 v[116:117], v[28:29], s[56:57]
	v_add_f64 v[6:7], v[12:13], v[6:7]
	v_mul_f64 v[12:13], v[0:1], s[38:39]
	buffer_store_dword v12, off, s[68:71], 0 offset:432 ; 4-byte Folded Spill
	buffer_store_dword v13, off, s[68:71], 0 offset:436 ; 4-byte Folded Spill
	v_mul_f64 v[242:243], v[0:1], s[36:37]
	v_mul_f64 v[124:125], v[0:1], s[52:53]
	v_mul_f64 v[94:95], v[0:1], s[34:35]
	v_fma_f64 v[12:13], v[188:189], s[14:15], v[12:13]
	v_add_f64 v[2:3], v[12:13], v[2:3]
	v_mul_f64 v[12:13], v[6:7], v[59:60]
	v_mul_f64 v[59:60], v[2:3], v[59:60]
	v_fma_f64 v[61:62], v[2:3], v[57:58], -v[12:13]
	v_mul_f64 v[12:13], v[28:29], s[42:43]
	v_fma_f64 v[2:3], v[250:251], s[28:29], v[118:119]
	v_fma_f64 v[118:119], v[250:251], s[28:29], -v[118:119]
	v_fma_f64 v[59:60], v[6:7], v[57:58], v[59:60]
	v_mul_f64 v[6:7], v[37:38], s[42:43]
	buffer_store_dword v59, off, s[68:71], 0 offset:4 ; 4-byte Folded Spill
	buffer_store_dword v60, off, s[68:71], 0 offset:8 ; 4-byte Folded Spill
	;; [unrolled: 1-line block ×8, first 2 shown]
	v_add_f64 v[2:3], v[35:36], v[2:3]
	v_add_f64 v[118:119], v[35:36], v[118:119]
	v_fma_f64 v[6:7], v[134:135], s[20:21], v[6:7]
	v_fma_f64 v[12:13], v[144:145], s[20:21], -v[12:13]
	v_add_f64 v[2:3], v[6:7], v[2:3]
	v_fma_f64 v[6:7], v[254:255], s[28:29], -v[88:89]
	v_add_f64 v[6:7], v[33:34], v[6:7]
	v_add_f64 v[6:7], v[12:13], v[6:7]
	v_mul_f64 v[12:13], v[26:27], s[34:35]
	buffer_store_dword v12, off, s[68:71], 0 offset:704 ; 4-byte Folded Spill
	buffer_store_dword v13, off, s[68:71], 0 offset:708 ; 4-byte Folded Spill
	v_fma_f64 v[12:13], v[142:143], s[18:19], v[12:13]
	v_add_f64 v[2:3], v[12:13], v[2:3]
	v_mul_f64 v[12:13], v[22:23], s[34:35]
	buffer_store_dword v12, off, s[68:71], 0 offset:696 ; 4-byte Folded Spill
	buffer_store_dword v13, off, s[68:71], 0 offset:700 ; 4-byte Folded Spill
	v_fma_f64 v[12:13], v[156:157], s[18:19], -v[12:13]
	v_add_f64 v[6:7], v[12:13], v[6:7]
	v_mul_f64 v[12:13], v[20:21], s[38:39]
	buffer_store_dword v12, off, s[68:71], 0 offset:680 ; 4-byte Folded Spill
	buffer_store_dword v13, off, s[68:71], 0 offset:684 ; 4-byte Folded Spill
	v_fma_f64 v[12:13], v[150:151], s[14:15], v[12:13]
	v_add_f64 v[2:3], v[12:13], v[2:3]
	v_mul_f64 v[12:13], v[180:181], s[38:39]
	buffer_store_dword v12, off, s[68:71], 0 offset:664 ; 4-byte Folded Spill
	buffer_store_dword v13, off, s[68:71], 0 offset:668 ; 4-byte Folded Spill
	v_fma_f64 v[12:13], v[164:165], s[14:15], -v[12:13]
	;; [unrolled: 10-line block ×5, first 2 shown]
	v_add_f64 v[6:7], v[12:13], v[6:7]
	v_mul_f64 v[12:13], v[4:5], s[50:51]
	buffer_store_dword v12, off, s[68:71], 0 offset:608 ; 4-byte Folded Spill
	buffer_store_dword v13, off, s[68:71], 0 offset:612 ; 4-byte Folded Spill
	v_fma_f64 v[12:13], v[168:169], s[6:7], -v[12:13]
	v_add_f64 v[6:7], v[12:13], v[6:7]
	v_mul_f64 v[12:13], v[0:1], s[50:51]
	buffer_store_dword v12, off, s[68:71], 0 offset:600 ; 4-byte Folded Spill
	buffer_store_dword v13, off, s[68:71], 0 offset:604 ; 4-byte Folded Spill
	v_fma_f64 v[12:13], v[188:189], s[6:7], v[12:13]
	v_add_f64 v[2:3], v[12:13], v[2:3]
	v_mul_f64 v[12:13], v[6:7], v[43:44]
	v_mul_f64 v[43:44], v[2:3], v[43:44]
	v_fma_f64 v[59:60], v[2:3], v[41:42], -v[12:13]
	v_fma_f64 v[2:3], v[250:251], s[8:9], v[86:87]
	v_fma_f64 v[86:87], v[250:251], s[8:9], -v[86:87]
	v_fma_f64 v[57:58], v[6:7], v[41:42], v[43:44]
	v_fma_f64 v[6:7], v[134:135], s[18:19], v[224:225]
	v_add_f64 v[2:3], v[35:36], v[2:3]
	buffer_store_dword v57, off, s[68:71], 0 offset:20 ; 4-byte Folded Spill
	buffer_store_dword v58, off, s[68:71], 0 offset:24 ; 4-byte Folded Spill
	;; [unrolled: 1-line block ×4, first 2 shown]
	v_mul_f64 v[57:58], v[30:31], s[46:47]
	v_add_f64 v[2:3], v[6:7], v[2:3]
	v_mul_f64 v[6:7], v[28:29], s[34:35]
	buffer_store_dword v6, off, s[68:71], 0 offset:712 ; 4-byte Folded Spill
	buffer_store_dword v7, off, s[68:71], 0 offset:716 ; 4-byte Folded Spill
	v_fma_f64 v[12:13], v[254:255], s[8:9], -v[57:58]
	v_add_f64 v[86:87], v[35:36], v[86:87]
	v_add_f64 v[12:13], v[33:34], v[12:13]
	v_fma_f64 v[41:42], v[144:145], s[18:19], -v[6:7]
	v_mul_f64 v[6:7], v[30:31], s[30:31]
	v_add_f64 v[12:13], v[41:42], v[12:13]
	v_fma_f64 v[41:42], v[142:143], s[14:15], v[230:231]
	v_add_f64 v[2:3], v[41:42], v[2:3]
	v_fma_f64 v[41:42], v[156:157], s[14:15], -v[226:227]
	v_add_f64 v[12:13], v[41:42], v[12:13]
	v_fma_f64 v[41:42], v[150:151], s[22:23], v[234:235]
	v_add_f64 v[2:3], v[41:42], v[2:3]
	v_fma_f64 v[41:42], v[164:165], s[22:23], -v[228:229]
	;; [unrolled: 4-line block ×5, first 2 shown]
	v_add_f64 v[12:13], v[41:42], v[12:13]
	v_fma_f64 v[41:42], v[168:169], s[16:17], -v[246:247]
	v_add_f64 v[12:13], v[41:42], v[12:13]
	v_fma_f64 v[41:42], v[188:189], s[16:17], v[242:243]
	v_add_f64 v[2:3], v[41:42], v[2:3]
	v_mul_f64 v[41:42], v[12:13], v[49:50]
	v_mul_f64 v[43:44], v[2:3], v[49:50]
	v_fma_f64 v[61:62], v[2:3], v[45:46], -v[41:42]
	v_fma_f64 v[2:3], v[250:251], s[20:21], v[122:123]
	v_mul_f64 v[49:50], v[30:31], s[42:43]
	v_fma_f64 v[41:42], v[144:145], s[14:15], -v[174:175]
	v_fma_f64 v[122:123], v[250:251], s[20:21], -v[122:123]
	v_fma_f64 v[59:60], v[12:13], v[45:46], v[43:44]
	v_fma_f64 v[12:13], v[134:135], s[14:15], v[170:171]
	v_add_f64 v[2:3], v[35:36], v[2:3]
	buffer_store_dword v59, off, s[68:71], 0 offset:40 ; 4-byte Folded Spill
	buffer_store_dword v60, off, s[68:71], 0 offset:44 ; 4-byte Folded Spill
	;; [unrolled: 1-line block ×4, first 2 shown]
	v_mul_f64 v[59:60], v[14:15], s[44:45]
	v_add_f64 v[2:3], v[12:13], v[2:3]
	v_fma_f64 v[12:13], v[254:255], s[20:21], -v[49:50]
	v_mul_f64 v[61:62], v[4:5], s[48:49]
	v_fma_f64 v[49:50], v[254:255], s[20:21], v[49:50]
	v_add_f64 v[122:123], v[35:36], v[122:123]
	v_add_f64 v[12:13], v[33:34], v[12:13]
	v_fma_f64 v[204:205], v[168:169], s[8:9], -v[61:62]
	v_add_f64 v[49:50], v[33:34], v[49:50]
	v_add_f64 v[12:13], v[41:42], v[12:13]
	v_fma_f64 v[41:42], v[142:143], s[22:23], v[158:159]
	v_add_f64 v[2:3], v[41:42], v[2:3]
	v_fma_f64 v[41:42], v[156:157], s[22:23], -v[166:167]
	v_add_f64 v[12:13], v[41:42], v[12:13]
	v_fma_f64 v[41:42], v[150:151], s[6:7], v[148:149]
	v_add_f64 v[2:3], v[41:42], v[2:3]
	v_fma_f64 v[41:42], v[164:165], s[6:7], -v[160:161]
	;; [unrolled: 4-line block ×5, first 2 shown]
	v_add_f64 v[12:13], v[41:42], v[12:13]
	v_fma_f64 v[41:42], v[168:169], s[28:29], -v[126:127]
	v_add_f64 v[12:13], v[41:42], v[12:13]
	v_fma_f64 v[41:42], v[188:189], s[28:29], v[124:125]
	v_add_f64 v[2:3], v[41:42], v[2:3]
	v_mul_f64 v[41:42], v[12:13], v[47:48]
	v_mul_f64 v[43:44], v[2:3], v[47:48]
	v_fma_f64 v[45:46], v[2:3], v[55:56], -v[41:42]
	v_fma_f64 v[41:42], v[134:135], s[16:17], v[112:113]
	v_mul_f64 v[2:3], v[30:31], s[34:35]
	v_fma_f64 v[43:44], v[12:13], v[55:56], v[43:44]
	v_mul_f64 v[55:56], v[39:40], s[30:31]
	buffer_store_dword v43, off, s[68:71], 0 offset:56 ; 4-byte Folded Spill
	buffer_store_dword v44, off, s[68:71], 0 offset:60 ; 4-byte Folded Spill
	;; [unrolled: 1-line block ×4, first 2 shown]
	v_fma_f64 v[12:13], v[250:251], s[22:23], v[55:56]
	v_fma_f64 v[45:46], v[144:145], s[16:17], -v[116:117]
	v_fma_f64 v[55:56], v[250:251], s[22:23], -v[55:56]
	v_add_f64 v[12:13], v[35:36], v[12:13]
	v_add_f64 v[55:56], v[35:36], v[55:56]
	;; [unrolled: 1-line block ×3, first 2 shown]
	v_fma_f64 v[41:42], v[254:255], s[22:23], -v[6:7]
	v_fma_f64 v[6:7], v[254:255], s[22:23], v[6:7]
	v_add_f64 v[41:42], v[33:34], v[41:42]
	v_add_f64 v[6:7], v[33:34], v[6:7]
	;; [unrolled: 1-line block ×3, first 2 shown]
	v_fma_f64 v[45:46], v[142:143], s[28:29], v[106:107]
	v_add_f64 v[12:13], v[45:46], v[12:13]
	v_fma_f64 v[45:46], v[156:157], s[28:29], -v[114:115]
	v_add_f64 v[41:42], v[45:46], v[41:42]
	v_fma_f64 v[45:46], v[150:151], s[8:9], v[102:103]
	v_add_f64 v[12:13], v[45:46], v[12:13]
	v_fma_f64 v[45:46], v[164:165], s[8:9], -v[110:111]
	v_add_f64 v[41:42], v[45:46], v[41:42]
	;; [unrolled: 4-line block ×5, first 2 shown]
	v_fma_f64 v[45:46], v[168:169], s[18:19], -v[98:99]
	v_add_f64 v[41:42], v[45:46], v[41:42]
	v_fma_f64 v[45:46], v[188:189], s[18:19], v[94:95]
	v_add_f64 v[12:13], v[45:46], v[12:13]
	v_mul_f64 v[45:46], v[41:42], v[146:147]
	v_mul_f64 v[47:48], v[12:13], v[146:147]
	v_fma_f64 v[43:44], v[12:13], v[192:193], -v[45:46]
	v_fma_f64 v[45:46], v[144:145], s[22:23], -v[84:85]
	v_mul_f64 v[146:147], v[20:21], s[36:37]
	v_fma_f64 v[41:42], v[41:42], v[192:193], v[47:48]
	v_mul_f64 v[192:193], v[39:40], s[34:35]
	buffer_store_dword v41, off, s[68:71], 0 offset:72 ; 4-byte Folded Spill
	buffer_store_dword v42, off, s[68:71], 0 offset:76 ; 4-byte Folded Spill
	;; [unrolled: 1-line block ×4, first 2 shown]
	v_fma_f64 v[12:13], v[250:251], s[18:19], v[192:193]
	v_fma_f64 v[41:42], v[134:135], s[22:23], v[75:76]
	;; [unrolled: 1-line block ×3, first 2 shown]
	v_add_f64 v[12:13], v[35:36], v[12:13]
	v_add_f64 v[12:13], v[41:42], v[12:13]
	v_fma_f64 v[41:42], v[254:255], s[18:19], -v[2:3]
	v_fma_f64 v[2:3], v[254:255], s[18:19], v[2:3]
	v_add_f64 v[41:42], v[33:34], v[41:42]
	v_add_f64 v[2:3], v[33:34], v[2:3]
	;; [unrolled: 1-line block ×3, first 2 shown]
	v_fma_f64 v[45:46], v[142:143], s[6:7], v[69:70]
	v_add_f64 v[12:13], v[45:46], v[12:13]
	v_fma_f64 v[45:46], v[156:157], s[6:7], -v[77:78]
	v_add_f64 v[41:42], v[45:46], v[41:42]
	v_fma_f64 v[45:46], v[150:151], s[16:17], v[146:147]
	v_add_f64 v[12:13], v[45:46], v[12:13]
	v_fma_f64 v[45:46], v[164:165], s[16:17], -v[73:74]
	v_add_f64 v[12:13], v[47:48], v[12:13]
	v_add_f64 v[41:42], v[45:46], v[41:42]
	v_fma_f64 v[47:48], v[176:177], s[20:21], -v[71:72]
	v_mul_f64 v[45:46], v[8:9], s[38:39]
	v_add_f64 v[41:42], v[47:48], v[41:42]
	v_fma_f64 v[47:48], v[162:163], s[28:29], v[59:60]
	v_add_f64 v[12:13], v[47:48], v[12:13]
	v_fma_f64 v[47:48], v[182:183], s[28:29], -v[67:68]
	v_add_f64 v[41:42], v[47:48], v[41:42]
	v_fma_f64 v[47:48], v[172:173], s[14:15], v[45:46]
	v_add_f64 v[202:203], v[47:48], v[12:13]
	v_fma_f64 v[12:13], v[186:187], s[14:15], -v[65:66]
	v_mul_f64 v[47:48], v[0:1], s[48:49]
	v_add_f64 v[12:13], v[12:13], v[41:42]
	v_fma_f64 v[200:201], v[188:189], s[8:9], v[47:48]
	v_add_f64 v[204:205], v[204:205], v[12:13]
	v_add_f64 v[200:201], v[200:201], v[202:203]
	v_mul_f64 v[12:13], v[10:11], s[30:31]
	v_mul_f64 v[202:203], v[204:205], v[130:131]
	;; [unrolled: 1-line block ×3, first 2 shown]
	v_fma_f64 v[43:44], v[200:201], v[128:129], -v[202:203]
	v_mul_f64 v[200:201], v[39:40], s[36:37]
	v_fma_f64 v[41:42], v[204:205], v[128:129], v[130:131]
	v_mul_f64 v[202:203], v[37:38], s[48:49]
	v_mul_f64 v[204:205], v[30:31], s[36:37]
	buffer_store_dword v41, off, s[68:71], 0 offset:112 ; 4-byte Folded Spill
	buffer_store_dword v42, off, s[68:71], 0 offset:116 ; 4-byte Folded Spill
	;; [unrolled: 1-line block ×4, first 2 shown]
	v_fma_f64 v[128:129], v[250:251], s[16:17], v[200:201]
	v_fma_f64 v[130:131], v[134:135], s[8:9], v[202:203]
	v_mul_f64 v[43:44], v[28:29], s[48:49]
	v_mul_f64 v[41:42], v[0:1], s[30:31]
	;; [unrolled: 1-line block ×6, first 2 shown]
	v_add_f64 v[128:129], v[35:36], v[128:129]
	v_fma_f64 v[208:209], v[144:145], s[8:9], -v[43:44]
	v_add_f64 v[128:129], v[130:131], v[128:129]
	v_fma_f64 v[130:131], v[254:255], s[16:17], -v[204:205]
	v_add_f64 v[130:131], v[33:34], v[130:131]
	v_add_f64 v[130:131], v[208:209], v[130:131]
	v_mul_f64 v[208:209], v[26:27], s[42:43]
	v_mul_f64 v[26:27], v[26:27], s[36:37]
	v_fma_f64 v[210:211], v[142:143], s[20:21], v[208:209]
	v_add_f64 v[128:129], v[210:211], v[128:129]
	v_mul_f64 v[210:211], v[22:23], s[42:43]
	v_mul_f64 v[22:23], v[22:23], s[36:37]
	v_fma_f64 v[212:213], v[156:157], s[20:21], -v[210:211]
	v_add_f64 v[130:131], v[212:213], v[130:131]
	v_mul_f64 v[212:213], v[20:21], s[62:63]
	v_mul_f64 v[20:21], v[20:21], s[52:53]
	v_fma_f64 v[214:215], v[150:151], s[18:19], v[212:213]
	v_add_f64 v[128:129], v[214:215], v[128:129]
	v_mul_f64 v[214:215], v[180:181], s[62:63]
	v_mul_f64 v[180:181], v[180:181], s[52:53]
	v_fma_f64 v[216:217], v[164:165], s[18:19], -v[214:215]
	;; [unrolled: 8-line block ×5, first 2 shown]
	v_add_f64 v[130:131], v[194:195], v[130:131]
	v_mul_f64 v[194:195], v[4:5], s[30:31]
	v_mul_f64 v[4:5], v[0:1], s[64:65]
	v_fma_f64 v[190:191], v[168:169], s[22:23], -v[194:195]
	v_add_f64 v[190:191], v[190:191], v[130:131]
	v_fma_f64 v[130:131], v[188:189], s[22:23], v[41:42]
	v_add_f64 v[128:129], v[130:131], v[128:129]
	v_mul_f64 v[130:131], v[190:191], v[51:52]
	v_mul_f64 v[51:52], v[128:129], v[51:52]
	v_fma_f64 v[130:131], v[128:129], v[53:54], -v[130:131]
	v_fma_f64 v[128:129], v[190:191], v[53:54], v[51:52]
	v_fma_f64 v[51:52], v[250:251], s[14:15], v[39:40]
	;; [unrolled: 1-line block ×3, first 2 shown]
	v_fma_f64 v[190:191], v[144:145], s[6:7], -v[28:29]
	v_fma_f64 v[39:40], v[250:251], s[14:15], -v[39:40]
	v_add_f64 v[51:52], v[35:36], v[51:52]
	v_add_f64 v[39:40], v[35:36], v[39:40]
	;; [unrolled: 1-line block ×3, first 2 shown]
	v_fma_f64 v[53:54], v[254:255], s[14:15], -v[30:31]
	v_add_f64 v[53:54], v[33:34], v[53:54]
	v_add_f64 v[53:54], v[190:191], v[53:54]
	v_fma_f64 v[190:191], v[142:143], s[16:17], v[26:27]
	v_fma_f64 v[26:27], v[142:143], s[16:17], -v[26:27]
	v_add_f64 v[51:52], v[190:191], v[51:52]
	v_fma_f64 v[190:191], v[156:157], s[16:17], -v[22:23]
	v_add_f64 v[53:54], v[190:191], v[53:54]
	v_fma_f64 v[190:191], v[150:151], s[28:29], v[20:21]
	v_fma_f64 v[20:21], v[150:151], s[28:29], -v[20:21]
	v_add_f64 v[51:52], v[190:191], v[51:52]
	v_fma_f64 v[190:191], v[164:165], s[28:29], -v[180:181]
	;; [unrolled: 5-line block ×3, first 2 shown]
	v_add_f64 v[53:54], v[190:191], v[53:54]
	v_fma_f64 v[190:191], v[162:163], s[8:9], v[14:15]
	v_fma_f64 v[14:15], v[162:163], s[8:9], -v[14:15]
	v_add_f64 v[51:52], v[190:191], v[51:52]
	v_fma_f64 v[190:191], v[172:173], s[22:23], v[8:9]
	v_fma_f64 v[8:9], v[172:173], s[22:23], -v[8:9]
	v_add_f64 v[51:52], v[190:191], v[51:52]
	v_fma_f64 v[190:191], v[182:183], s[8:9], -v[16:17]
	v_add_f64 v[53:54], v[190:191], v[53:54]
	v_fma_f64 v[190:191], v[186:187], s[22:23], -v[12:13]
	v_fma_f64 v[12:13], v[186:187], s[22:23], v[12:13]
	v_add_f64 v[53:54], v[190:191], v[53:54]
	v_fma_f64 v[190:191], v[168:169], s[20:21], -v[10:11]
	v_fma_f64 v[10:11], v[168:169], s[20:21], v[10:11]
	v_add_f64 v[53:54], v[190:191], v[53:54]
	v_fma_f64 v[190:191], v[188:189], s[20:21], v[4:5]
	v_fma_f64 v[4:5], v[188:189], s[20:21], -v[4:5]
	v_add_f64 v[51:52], v[190:191], v[51:52]
	v_mul_f64 v[190:191], v[53:54], v[82:83]
	v_mul_f64 v[0:1], v[51:52], v[82:83]
	v_fma_f64 v[82:83], v[51:52], v[80:81], -v[190:191]
	v_fma_f64 v[51:52], v[254:255], s[8:9], v[57:58]
	v_fma_f64 v[57:58], v[254:255], s[6:7], v[178:179]
	v_fma_f64 v[178:179], v[250:251], s[18:19], -v[192:193]
	v_fma_f64 v[190:191], v[250:251], s[6:7], -v[252:253]
	v_fma_f64 v[80:81], v[53:54], v[80:81], v[0:1]
	v_fma_f64 v[0:1], v[254:255], s[14:15], v[30:31]
	;; [unrolled: 1-line block ×4, first 2 shown]
	v_fma_f64 v[88:89], v[250:251], s[16:17], -v[200:201]
	v_add_f64 v[178:179], v[35:36], v[178:179]
	v_add_f64 v[51:52], v[33:34], v[51:52]
	v_add_f64 v[57:58], v[33:34], v[57:58]
	v_add_f64 v[190:191], v[35:36], v[190:191]
	v_add_f64 v[0:1], v[33:34], v[0:1]
	v_add_f64 v[30:31], v[33:34], v[30:31]
	v_add_f64 v[53:54], v[33:34], v[53:54]
	v_add_f64 v[88:89], v[35:36], v[88:89]
	v_add_f64 v[32:33], v[33:34], v[184:185]
	v_add_f64 v[34:35], v[35:36], v[222:223]
	v_fma_f64 v[36:37], v[134:135], s[6:7], -v[37:38]
	v_add_f64 v[36:37], v[36:37], v[39:40]
	v_add_f64 v[26:27], v[26:27], v[36:37]
	;; [unrolled: 1-line block ×3, first 2 shown]
	v_fma_f64 v[26:27], v[188:189], s[16:17], -v[242:243]
	v_add_f64 v[18:19], v[18:19], v[20:21]
	v_fma_f64 v[20:21], v[156:157], s[22:23], v[166:167]
	v_add_f64 v[14:15], v[14:15], v[18:19]
	v_add_f64 v[8:9], v[8:9], v[14:15]
	v_fma_f64 v[14:15], v[144:145], s[6:7], v[28:29]
	v_add_f64 v[4:5], v[4:5], v[8:9]
	v_add_f64 v[0:1], v[14:15], v[0:1]
	v_fma_f64 v[14:15], v[156:157], s[16:17], v[22:23]
	v_fma_f64 v[8:9], v[134:135], s[8:9], -v[202:203]
	v_add_f64 v[0:1], v[14:15], v[0:1]
	v_fma_f64 v[14:15], v[164:165], s[28:29], v[180:181]
	v_add_f64 v[8:9], v[8:9], v[88:89]
	v_add_f64 v[0:1], v[14:15], v[0:1]
	v_fma_f64 v[14:15], v[176:177], s[18:19], v[24:25]
	v_fma_f64 v[24:25], v[156:157], s[14:15], v[226:227]
	v_add_f64 v[0:1], v[14:15], v[0:1]
	v_fma_f64 v[14:15], v[182:183], s[8:9], v[16:17]
	v_fma_f64 v[16:17], v[142:143], s[28:29], -v[106:107]
	v_add_f64 v[0:1], v[14:15], v[0:1]
	v_fma_f64 v[14:15], v[142:143], s[6:7], -v[69:70]
	v_add_f64 v[0:1], v[12:13], v[0:1]
	v_fma_f64 v[12:13], v[156:157], s[20:21], v[210:211]
	v_add_f64 v[0:1], v[10:11], v[0:1]
	v_fma_f64 v[10:11], v[142:143], s[20:21], -v[208:209]
	v_add_f64 v[8:9], v[10:11], v[8:9]
	v_fma_f64 v[10:11], v[150:151], s[18:19], -v[212:213]
	;; [unrolled: 2-line block ×5, first 2 shown]
	v_add_f64 v[8:9], v[10:11], v[8:9]
	v_fma_f64 v[10:11], v[144:145], s[8:9], v[43:44]
	v_add_f64 v[10:11], v[10:11], v[30:31]
	v_add_f64 v[10:11], v[12:13], v[10:11]
	v_fma_f64 v[12:13], v[164:165], s[18:19], v[214:215]
	v_add_f64 v[10:11], v[12:13], v[10:11]
	v_fma_f64 v[12:13], v[176:177], s[6:7], v[218:219]
	;; [unrolled: 2-line block ×5, first 2 shown]
	v_add_f64 v[10:11], v[12:13], v[10:11]
	v_fma_f64 v[12:13], v[188:189], s[22:23], -v[41:42]
	v_add_f64 v[8:9], v[12:13], v[8:9]
	v_fma_f64 v[12:13], v[134:135], s[22:23], -v[75:76]
	v_add_f64 v[12:13], v[12:13], v[178:179]
	v_add_f64 v[12:13], v[14:15], v[12:13]
	v_fma_f64 v[14:15], v[150:151], s[16:17], -v[146:147]
	v_add_f64 v[12:13], v[14:15], v[12:13]
	v_fma_f64 v[14:15], v[154:155], s[20:21], -v[63:64]
	;; [unrolled: 2-line block ×4, first 2 shown]
	v_add_f64 v[12:13], v[14:15], v[12:13]
	v_fma_f64 v[14:15], v[144:145], s[22:23], v[84:85]
	v_add_f64 v[2:3], v[14:15], v[2:3]
	v_fma_f64 v[14:15], v[156:157], s[6:7], v[77:78]
	;; [unrolled: 2-line block ×7, first 2 shown]
	v_add_f64 v[14:15], v[14:15], v[2:3]
	v_fma_f64 v[2:3], v[188:189], s[8:9], -v[47:48]
	v_add_f64 v[12:13], v[2:3], v[12:13]
	v_fma_f64 v[2:3], v[134:135], s[16:17], -v[112:113]
	v_add_f64 v[2:3], v[2:3], v[55:56]
	v_add_f64 v[2:3], v[16:17], v[2:3]
	v_fma_f64 v[16:17], v[150:151], s[8:9], -v[102:103]
	v_add_f64 v[2:3], v[16:17], v[2:3]
	v_fma_f64 v[16:17], v[154:155], s[14:15], -v[96:97]
	;; [unrolled: 2-line block ×4, first 2 shown]
	v_add_f64 v[2:3], v[16:17], v[2:3]
	v_fma_f64 v[16:17], v[144:145], s[16:17], v[116:117]
	v_add_f64 v[6:7], v[16:17], v[6:7]
	v_fma_f64 v[16:17], v[156:157], s[28:29], v[114:115]
	v_add_f64 v[6:7], v[16:17], v[6:7]
	v_fma_f64 v[16:17], v[164:165], s[8:9], v[110:111]
	v_add_f64 v[6:7], v[16:17], v[6:7]
	v_fma_f64 v[16:17], v[176:177], s[14:15], v[108:109]
	v_add_f64 v[6:7], v[16:17], v[6:7]
	v_fma_f64 v[16:17], v[182:183], s[20:21], v[104:105]
	v_add_f64 v[6:7], v[16:17], v[6:7]
	v_fma_f64 v[16:17], v[186:187], s[6:7], v[100:101]
	v_add_f64 v[6:7], v[16:17], v[6:7]
	v_fma_f64 v[16:17], v[168:169], s[18:19], v[98:99]
	v_add_f64 v[16:17], v[16:17], v[6:7]
	v_fma_f64 v[6:7], v[188:189], s[18:19], -v[94:95]
	v_add_f64 v[18:19], v[6:7], v[2:3]
	v_fma_f64 v[2:3], v[134:135], s[14:15], -v[170:171]
	v_fma_f64 v[6:7], v[142:143], s[22:23], -v[158:159]
	v_add_f64 v[2:3], v[2:3], v[122:123]
	v_add_f64 v[2:3], v[6:7], v[2:3]
	v_fma_f64 v[6:7], v[150:151], s[6:7], -v[148:149]
	v_add_f64 v[2:3], v[6:7], v[2:3]
	v_fma_f64 v[6:7], v[154:155], s[8:9], -v[132:133]
	;; [unrolled: 2-line block ×3, first 2 shown]
	v_add_f64 v[2:3], v[6:7], v[2:3]
	v_fma_f64 v[6:7], v[144:145], s[14:15], v[174:175]
	v_add_f64 v[6:7], v[6:7], v[49:50]
	v_add_f64 v[6:7], v[20:21], v[6:7]
	v_fma_f64 v[20:21], v[164:165], s[6:7], v[160:161]
	v_add_f64 v[6:7], v[20:21], v[6:7]
	v_fma_f64 v[20:21], v[176:177], s[8:9], v[152:153]
	;; [unrolled: 2-line block ×3, first 2 shown]
	v_add_f64 v[6:7], v[20:21], v[6:7]
	v_fma_f64 v[20:21], v[172:173], s[18:19], -v[138:139]
	v_add_f64 v[2:3], v[20:21], v[2:3]
	v_fma_f64 v[20:21], v[186:187], s[18:19], v[136:137]
	v_add_f64 v[6:7], v[20:21], v[6:7]
	v_fma_f64 v[20:21], v[168:169], s[28:29], v[126:127]
	v_add_f64 v[20:21], v[20:21], v[6:7]
	v_fma_f64 v[6:7], v[188:189], s[28:29], -v[124:125]
	v_add_f64 v[22:23], v[6:7], v[2:3]
	v_fma_f64 v[2:3], v[134:135], s[18:19], -v[224:225]
	v_fma_f64 v[6:7], v[142:143], s[14:15], -v[230:231]
	v_add_f64 v[2:3], v[2:3], v[86:87]
	v_add_f64 v[2:3], v[6:7], v[2:3]
	v_fma_f64 v[6:7], v[150:151], s[22:23], -v[234:235]
	v_add_f64 v[2:3], v[6:7], v[2:3]
	v_fma_f64 v[6:7], v[154:155], s[28:29], -v[244:245]
	;; [unrolled: 2-line block ×3, first 2 shown]
	v_add_f64 v[2:3], v[6:7], v[2:3]
	s_clause 0x1
	buffer_load_dword v6, off, s[68:71], 0 offset:712
	buffer_load_dword v7, off, s[68:71], 0 offset:716
	s_waitcnt vmcnt(0)
	v_fma_f64 v[6:7], v[144:145], s[18:19], v[6:7]
	v_add_f64 v[6:7], v[6:7], v[51:52]
	v_add_f64 v[6:7], v[24:25], v[6:7]
	v_fma_f64 v[24:25], v[164:165], s[22:23], v[228:229]
	v_add_f64 v[6:7], v[24:25], v[6:7]
	v_fma_f64 v[24:25], v[176:177], s[28:29], v[232:233]
	;; [unrolled: 2-line block ×3, first 2 shown]
	v_add_f64 v[6:7], v[24:25], v[6:7]
	v_fma_f64 v[24:25], v[172:173], s[20:21], -v[238:239]
	v_add_f64 v[2:3], v[24:25], v[2:3]
	v_fma_f64 v[24:25], v[186:187], s[20:21], v[240:241]
	v_add_f64 v[26:27], v[26:27], v[2:3]
	v_add_f64 v[6:7], v[24:25], v[6:7]
	v_fma_f64 v[24:25], v[168:169], s[16:17], v[246:247]
	v_add_f64 v[24:25], v[24:25], v[6:7]
	s_clause 0x5
	buffer_load_dword v6, off, s[68:71], 0 offset:464
	buffer_load_dword v7, off, s[68:71], 0 offset:468
	;; [unrolled: 1-line block ×6, first 2 shown]
	s_waitcnt vmcnt(4)
	v_add_f64 v[6:7], v[32:33], v[6:7]
	s_waitcnt vmcnt(2)
	v_add_f64 v[2:3], v[34:35], v[2:3]
	;; [unrolled: 2-line block ×3, first 2 shown]
	s_clause 0x3
	buffer_load_dword v28, off, s[68:71], 0 offset:688
	buffer_load_dword v29, off, s[68:71], 0 offset:692
	;; [unrolled: 1-line block ×4, first 2 shown]
	s_waitcnt vmcnt(2)
	v_fma_f64 v[28:29], v[134:135], s[20:21], -v[28:29]
	s_waitcnt vmcnt(0)
	v_add_f64 v[2:3], v[2:3], v[30:31]
	s_clause 0x1
	buffer_load_dword v30, off, s[68:71], 0 offset:504
	buffer_load_dword v31, off, s[68:71], 0 offset:508
	v_add_f64 v[28:29], v[28:29], v[118:119]
	s_waitcnt vmcnt(0)
	v_add_f64 v[6:7], v[6:7], v[30:31]
	s_clause 0x1
	buffer_load_dword v30, off, s[68:71], 0 offset:704
	buffer_load_dword v31, off, s[68:71], 0 offset:708
	s_waitcnt vmcnt(0)
	v_fma_f64 v[30:31], v[142:143], s[18:19], -v[30:31]
	v_add_f64 v[28:29], v[30:31], v[28:29]
	s_clause 0x1
	buffer_load_dword v30, off, s[68:71], 0 offset:488
	buffer_load_dword v31, off, s[68:71], 0 offset:492
	s_waitcnt vmcnt(0)
	v_add_f64 v[2:3], v[2:3], v[30:31]
	s_clause 0x1
	buffer_load_dword v30, off, s[68:71], 0 offset:528
	buffer_load_dword v31, off, s[68:71], 0 offset:532
	s_waitcnt vmcnt(0)
	v_add_f64 v[6:7], v[6:7], v[30:31]
	s_clause 0x3
	buffer_load_dword v30, off, s[68:71], 0 offset:672
	buffer_load_dword v31, off, s[68:71], 0 offset:676
	;; [unrolled: 1-line block ×4, first 2 shown]
	s_waitcnt vmcnt(2)
	v_fma_f64 v[30:31], v[144:145], s[20:21], v[30:31]
	s_waitcnt vmcnt(0)
	v_add_f64 v[2:3], v[2:3], v[32:33]
	s_clause 0x1
	buffer_load_dword v32, off, s[68:71], 0 offset:544
	buffer_load_dword v33, off, s[68:71], 0 offset:548
	v_add_f64 v[30:31], v[30:31], v[53:54]
	s_waitcnt vmcnt(0)
	v_add_f64 v[6:7], v[6:7], v[32:33]
	s_clause 0x1
	buffer_load_dword v32, off, s[68:71], 0 offset:696
	buffer_load_dword v33, off, s[68:71], 0 offset:700
	s_waitcnt vmcnt(0)
	v_fma_f64 v[32:33], v[156:157], s[18:19], v[32:33]
	v_add_f64 v[30:31], v[32:33], v[30:31]
	s_clause 0x1
	buffer_load_dword v32, off, s[68:71], 0 offset:536
	buffer_load_dword v33, off, s[68:71], 0 offset:540
	s_waitcnt vmcnt(0)
	v_add_f64 v[2:3], v[2:3], v[32:33]
	s_clause 0x1
	buffer_load_dword v32, off, s[68:71], 0 offset:568
	buffer_load_dword v33, off, s[68:71], 0 offset:572
	s_waitcnt vmcnt(0)
	;; [unrolled: 5-line block ×3, first 2 shown]
	v_fma_f64 v[32:33], v[150:151], s[14:15], -v[32:33]
	v_add_f64 v[28:29], v[32:33], v[28:29]
	s_clause 0x1
	buffer_load_dword v32, off, s[68:71], 0 offset:552
	buffer_load_dword v33, off, s[68:71], 0 offset:556
	s_waitcnt vmcnt(0)
	v_add_f64 v[2:3], v[2:3], v[32:33]
	s_clause 0x1
	buffer_load_dword v32, off, s[68:71], 0 offset:592
	buffer_load_dword v33, off, s[68:71], 0 offset:596
	s_waitcnt vmcnt(0)
	;; [unrolled: 5-line block ×3, first 2 shown]
	v_fma_f64 v[32:33], v[164:165], s[14:15], v[32:33]
	v_add_f64 v[30:31], v[32:33], v[30:31]
	s_clause 0x1
	buffer_load_dword v32, off, s[68:71], 0 offset:584
	buffer_load_dword v33, off, s[68:71], 0 offset:588
	s_waitcnt vmcnt(0)
	v_add_f64 v[2:3], v[2:3], v[32:33]
	s_clause 0x1
	buffer_load_dword v32, off, s[68:71], 0 offset:576
	buffer_load_dword v33, off, s[68:71], 0 offset:580
	s_waitcnt vmcnt(0)
	;; [unrolled: 5-line block ×3, first 2 shown]
	v_fma_f64 v[32:33], v[154:155], s[16:17], -v[32:33]
	v_add_f64 v[28:29], v[32:33], v[28:29]
	s_clause 0x5
	buffer_load_dword v32, off, s[68:71], 0 offset:304
	buffer_load_dword v33, off, s[68:71], 0 offset:308
	;; [unrolled: 1-line block ×6, first 2 shown]
	s_waitcnt vmcnt(4)
	v_fma_f64 v[32:33], v[134:135], s[28:29], -v[32:33]
	s_waitcnt vmcnt(2)
	v_fma_f64 v[34:35], v[144:145], s[28:29], v[34:35]
	s_waitcnt vmcnt(0)
	v_add_f64 v[2:3], v[2:3], v[36:37]
	s_clause 0x1
	buffer_load_dword v36, off, s[68:71], 0 offset:520
	buffer_load_dword v37, off, s[68:71], 0 offset:524
	v_add_f64 v[32:33], v[32:33], v[190:191]
	v_add_f64 v[34:35], v[34:35], v[57:58]
	s_waitcnt vmcnt(0)
	v_add_f64 v[6:7], v[6:7], v[36:37]
	s_clause 0x1
	buffer_load_dword v36, off, s[68:71], 0 offset:648
	buffer_load_dword v37, off, s[68:71], 0 offset:652
	s_waitcnt vmcnt(0)
	v_fma_f64 v[36:37], v[176:177], s[16:17], v[36:37]
	v_add_f64 v[30:31], v[36:37], v[30:31]
	s_clause 0x5
	buffer_load_dword v36, off, s[68:71], 0 offset:328
	buffer_load_dword v37, off, s[68:71], 0 offset:332
	;; [unrolled: 1-line block ×6, first 2 shown]
	s_waitcnt vmcnt(4)
	v_fma_f64 v[36:37], v[142:143], s[8:9], -v[36:37]
	s_waitcnt vmcnt(2)
	v_fma_f64 v[38:39], v[156:157], s[8:9], v[38:39]
	s_waitcnt vmcnt(0)
	v_add_f64 v[2:3], v[2:3], v[40:41]
	s_clause 0x1
	buffer_load_dword v40, off, s[68:71], 0 offset:456
	buffer_load_dword v41, off, s[68:71], 0 offset:460
	v_add_f64 v[32:33], v[36:37], v[32:33]
	v_add_f64 v[34:35], v[38:39], v[34:35]
	s_waitcnt vmcnt(0)
	v_add_f64 v[6:7], v[6:7], v[40:41]
	s_clause 0x1
	buffer_load_dword v40, off, s[68:71], 0 offset:640
	buffer_load_dword v41, off, s[68:71], 0 offset:644
	s_waitcnt vmcnt(0)
	v_fma_f64 v[40:41], v[182:183], s[22:23], v[40:41]
	v_add_f64 v[30:31], v[40:41], v[30:31]
	s_clause 0x5
	buffer_load_dword v40, off, s[68:71], 0 offset:344
	buffer_load_dword v41, off, s[68:71], 0 offset:348
	;; [unrolled: 1-line block ×6, first 2 shown]
	s_waitcnt vmcnt(4)
	v_fma_f64 v[40:41], v[150:151], s[20:21], -v[40:41]
	s_waitcnt vmcnt(2)
	v_fma_f64 v[42:43], v[164:165], s[20:21], v[42:43]
	s_waitcnt vmcnt(0)
	v_add_f64 v[2:3], v[2:3], v[36:37]
	s_clause 0x1
	buffer_load_dword v36, off, s[68:71], 0 offset:408
	buffer_load_dword v37, off, s[68:71], 0 offset:412
	v_add_f64 v[32:33], v[40:41], v[32:33]
	v_add_f64 v[34:35], v[42:43], v[34:35]
	s_waitcnt vmcnt(0)
	v_add_f64 v[6:7], v[6:7], v[36:37]
	s_clause 0x1
	buffer_load_dword v36, off, s[68:71], 0 offset:624
	buffer_load_dword v37, off, s[68:71], 0 offset:628
	s_waitcnt vmcnt(0)
	v_fma_f64 v[36:37], v[162:163], s[22:23], -v[36:37]
	v_add_f64 v[28:29], v[36:37], v[28:29]
	s_clause 0x5
	buffer_load_dword v36, off, s[68:71], 0 offset:352
	buffer_load_dword v37, off, s[68:71], 0 offset:356
	;; [unrolled: 1-line block ×6, first 2 shown]
	s_waitcnt vmcnt(4)
	v_fma_f64 v[36:37], v[154:155], s[22:23], -v[36:37]
	s_waitcnt vmcnt(2)
	v_fma_f64 v[38:39], v[176:177], s[22:23], v[38:39]
	s_waitcnt vmcnt(0)
	v_add_f64 v[2:3], v[2:3], v[40:41]
	s_clause 0x1
	buffer_load_dword v40, off, s[68:71], 0 offset:312
	buffer_load_dword v41, off, s[68:71], 0 offset:316
	v_add_f64 v[32:33], v[36:37], v[32:33]
	v_add_f64 v[34:35], v[38:39], v[34:35]
	s_waitcnt vmcnt(0)
	v_add_f64 v[6:7], v[6:7], v[40:41]
	s_clause 0x1
	buffer_load_dword v40, off, s[68:71], 0 offset:632
	buffer_load_dword v41, off, s[68:71], 0 offset:636
	s_waitcnt vmcnt(0)
	v_fma_f64 v[40:41], v[186:187], s[8:9], v[40:41]
	v_add_f64 v[30:31], v[40:41], v[30:31]
	s_clause 0x5
	buffer_load_dword v40, off, s[68:71], 0 offset:368
	buffer_load_dword v41, off, s[68:71], 0 offset:372
	;; [unrolled: 1-line block ×6, first 2 shown]
	s_waitcnt vmcnt(4)
	v_fma_f64 v[40:41], v[162:163], s[18:19], -v[40:41]
	s_waitcnt vmcnt(2)
	v_fma_f64 v[42:43], v[182:183], s[18:19], v[42:43]
	s_waitcnt vmcnt(0)
	v_add_f64 v[2:3], v[2:3], v[36:37]
	s_clause 0x1
	buffer_load_dword v36, off, s[68:71], 0 offset:288
	buffer_load_dword v37, off, s[68:71], 0 offset:292
	v_add_f64 v[32:33], v[40:41], v[32:33]
	v_add_f64 v[34:35], v[42:43], v[34:35]
	s_waitcnt vmcnt(0)
	v_add_f64 v[6:7], v[6:7], v[36:37]
	s_clause 0x1
	buffer_load_dword v36, off, s[68:71], 0 offset:616
	buffer_load_dword v37, off, s[68:71], 0 offset:620
	s_waitcnt vmcnt(0)
	v_fma_f64 v[36:37], v[172:173], s[8:9], -v[36:37]
	v_add_f64 v[28:29], v[36:37], v[28:29]
	s_clause 0x5
	buffer_load_dword v36, off, s[68:71], 0 offset:392
	buffer_load_dword v37, off, s[68:71], 0 offset:396
	;; [unrolled: 1-line block ×6, first 2 shown]
	s_waitcnt vmcnt(4)
	v_fma_f64 v[36:37], v[172:173], s[16:17], -v[36:37]
	s_waitcnt vmcnt(2)
	v_fma_f64 v[38:39], v[186:187], s[16:17], v[38:39]
	s_waitcnt vmcnt(0)
	v_add_f64 v[2:3], v[2:3], v[40:41]
	s_clause 0x1
	buffer_load_dword v40, off, s[68:71], 0 offset:272
	buffer_load_dword v41, off, s[68:71], 0 offset:276
	v_add_f64 v[32:33], v[36:37], v[32:33]
	v_add_f64 v[34:35], v[38:39], v[34:35]
	s_waitcnt vmcnt(0)
	v_add_f64 v[6:7], v[6:7], v[40:41]
	s_clause 0x1
	buffer_load_dword v40, off, s[68:71], 0 offset:608
	buffer_load_dword v41, off, s[68:71], 0 offset:612
	s_waitcnt vmcnt(0)
	v_fma_f64 v[40:41], v[168:169], s[6:7], v[40:41]
	v_add_f64 v[40:41], v[40:41], v[30:31]
	s_clause 0x1
	buffer_load_dword v30, off, s[68:71], 0 offset:264
	buffer_load_dword v31, off, s[68:71], 0 offset:268
	s_waitcnt vmcnt(0)
	v_add_f64 v[2:3], v[2:3], v[30:31]
	s_clause 0x9
	buffer_load_dword v30, off, s[68:71], 0 offset:600
	buffer_load_dword v31, off, s[68:71], 0 offset:604
	;; [unrolled: 1-line block ×10, first 2 shown]
	s_waitcnt vmcnt(8)
	v_fma_f64 v[30:31], v[188:189], s[6:7], -v[30:31]
	s_waitcnt vmcnt(6)
	v_fma_f64 v[42:43], v[188:189], s[14:15], -v[42:43]
	s_waitcnt vmcnt(4)
	v_fma_f64 v[44:45], v[168:169], s[14:15], v[44:45]
	s_waitcnt vmcnt(2)
	v_mul_f64 v[46:47], v[0:1], v[48:49]
	s_waitcnt vmcnt(0)
	v_mul_f64 v[38:39], v[10:11], v[50:51]
	v_mul_f64 v[36:37], v[8:9], v[50:51]
	s_clause 0x1
	buffer_load_dword v50, off, s[68:71], 0 offset:256
	buffer_load_dword v51, off, s[68:71], 0 offset:260
	v_mul_f64 v[48:49], v[4:5], v[48:49]
	v_add_f64 v[28:29], v[30:31], v[28:29]
	v_add_f64 v[32:33], v[42:43], v[32:33]
	;; [unrolled: 1-line block ×3, first 2 shown]
	s_waitcnt vmcnt(0)
	v_add_f64 v[50:51], v[6:7], v[50:51]
	s_clause 0x1
	buffer_load_dword v6, off, s[68:71], 0 offset:224
	buffer_load_dword v7, off, s[68:71], 0 offset:228
	s_waitcnt vmcnt(0)
	v_mul_f64 v[52:53], v[14:15], v[6:7]
	v_mul_f64 v[54:55], v[12:13], v[6:7]
	s_clause 0x1
	buffer_load_dword v6, off, s[68:71], 0 offset:232
	buffer_load_dword v7, off, s[68:71], 0 offset:236
	s_waitcnt vmcnt(0)
	v_mul_f64 v[56:57], v[16:17], v[6:7]
	v_mul_f64 v[58:59], v[18:19], v[6:7]
	s_clause 0x3
	buffer_load_dword v6, off, s[68:71], 0 offset:248
	buffer_load_dword v7, off, s[68:71], 0 offset:252
	;; [unrolled: 1-line block ×4, first 2 shown]
	s_waitcnt vmcnt(2)
	v_add_f64 v[60:61], v[2:3], v[6:7]
	s_clause 0x1
	buffer_load_dword v6, off, s[68:71], 0 offset:176
	buffer_load_dword v7, off, s[68:71], 0 offset:180
	s_waitcnt vmcnt(2)
	v_mul_f64 v[62:63], v[20:21], v[64:65]
	s_waitcnt vmcnt(0)
	v_fma_f64 v[2:3], v[4:5], v[6:7], -v[46:47]
	v_mul_f64 v[46:47], v[22:23], v[64:65]
	s_clause 0x1
	buffer_load_dword v64, off, s[68:71], 0 offset:128
	buffer_load_dword v65, off, s[68:71], 0 offset:132
	v_fma_f64 v[0:1], v[0:1], v[6:7], v[48:49]
	v_mov_b32_e32 v4, 0x227
	s_waitcnt vmcnt(0)
	v_fma_f64 v[6:7], v[8:9], v[64:65], -v[38:39]
	s_clause 0x4
	buffer_load_dword v8, off, s[68:71], 0 offset:192
	buffer_load_dword v9, off, s[68:71], 0 offset:196
	;; [unrolled: 1-line block ×5, first 2 shown]
	s_waitcnt vmcnt(3)
	v_mul_f64 v[38:39], v[24:25], v[8:9]
	s_waitcnt vmcnt(2)
	v_mul_u32_u24_sdwa v4, v5, v4 dst_sel:DWORD dst_unused:UNUSED_PAD src0_sel:WORD_0 src1_sel:DWORD
	v_mul_f64 v[48:49], v[26:27], v[8:9]
	s_waitcnt vmcnt(0)
	v_mul_f64 v[30:31], v[40:41], v[66:67]
	v_lshrrev_b32_e32 v42, 16, v4
	v_fma_f64 v[4:5], v[10:11], v[64:65], v[36:37]
	s_clause 0x3
	buffer_load_dword v36, off, s[68:71], 0 offset:104
	buffer_load_dword v37, off, s[68:71], 0 offset:108
	;; [unrolled: 1-line block ×4, first 2 shown]
	v_mul_lo_u16 v42, 0x121, v42
	s_waitcnt vmcnt(2)
	v_mul_f64 v[34:35], v[50:51], v[36:37]
	s_waitcnt vmcnt(0)
	v_fma_f64 v[10:11], v[12:13], v[8:9], -v[52:53]
	s_clause 0x1
	buffer_load_dword v12, off, s[68:71], 0 offset:144
	buffer_load_dword v13, off, s[68:71], 0 offset:148
	v_fma_f64 v[8:9], v[14:15], v[8:9], v[54:55]
	v_add_nc_u32_sdwa v54, v79, v42 dst_sel:DWORD dst_unused:UNUSED_PAD src0_sel:DWORD src1_sel:WORD_0
	v_mul_f64 v[36:37], v[60:61], v[36:37]
	s_waitcnt vmcnt(0)
	v_fma_f64 v[14:15], v[18:19], v[12:13], -v[56:57]
	v_fma_f64 v[12:13], v[16:17], v[12:13], v[58:59]
	s_clause 0x2
	buffer_load_dword v16, off, s[68:71], 0 offset:152
	buffer_load_dword v17, off, s[68:71], 0 offset:156
	buffer_load_dword v52, off, s[68:71], 0
	v_add_nc_u32_e32 v57, 51, v54
	s_waitcnt vmcnt(1)
	v_fma_f64 v[18:19], v[22:23], v[16:17], -v[62:63]
	v_fma_f64 v[16:17], v[20:21], v[16:17], v[46:47]
	s_clause 0x3
	buffer_load_dword v20, off, s[68:71], 0 offset:160
	buffer_load_dword v21, off, s[68:71], 0 offset:164
	;; [unrolled: 1-line block ×4, first 2 shown]
	s_waitcnt vmcnt(4)
	v_mad_u64_u32 v[42:43], null, s2, v52, 0
	v_mad_u64_u32 v[46:47], null, s0, v54, 0
	s_mul_i32 s2, s61, s24
	s_waitcnt vmcnt(2)
	v_fma_f64 v[22:23], v[26:27], v[20:21], -v[38:39]
	v_fma_f64 v[20:21], v[24:25], v[20:21], v[48:49]
	v_mul_f64 v[24:25], v[28:29], v[66:67]
	s_waitcnt vmcnt(0)
	v_fma_f64 v[26:27], v[28:29], v[58:59], -v[30:31]
	s_clause 0x3
	buffer_load_dword v29, off, s[68:71], 0 offset:184
	buffer_load_dword v30, off, s[68:71], 0 offset:188
	;; [unrolled: 1-line block ×4, first 2 shown]
	v_mov_b32_e32 v28, v43
	v_fma_f64 v[24:25], v[40:41], v[58:59], v[24:25]
	s_clause 0x1
	buffer_load_dword v40, off, s[68:71], 0 offset:88
	buffer_load_dword v41, off, s[68:71], 0 offset:92
	s_waitcnt vmcnt(4)
	v_mul_f64 v[38:39], v[29:30], v[44:45]
	v_mul_f64 v[48:49], v[29:30], v[32:33]
	s_waitcnt vmcnt(2)
	v_fma_f64 v[30:31], v[60:61], v[55:56], -v[34:35]
	v_mov_b32_e32 v29, v47
	v_mad_u64_u32 v[34:35], null, s3, v52, v[28:29]
	s_mul_hi_u32 s3, s60, s24
	s_add_i32 s3, s3, s2
	s_mul_i32 s2, s60, s24
	s_lshl_b64 s[2:3], s[2:3], 4
	v_mov_b32_e32 v43, v34
	s_add_u32 s6, s10, s2
	s_addc_u32 s7, s11, s3
	s_lshl_b64 s[2:3], s[4:5], 4
	v_lshlrev_b64 v[34:35], 4, v[42:43]
	s_add_u32 s2, s6, s2
	s_addc_u32 s3, s7, s3
	v_mad_u64_u32 v[52:53], null, s1, v54, v[29:30]
	v_fma_f64 v[28:29], v[50:51], v[55:56], v[36:37]
	v_add_nc_u32_e32 v50, 17, v54
	v_add_co_u32 v55, vcc_lo, s2, v34
	v_add_co_ci_u32_e32 v56, vcc_lo, s3, v35, vcc_lo
	v_mov_b32_e32 v47, v52
	v_add_nc_u32_e32 v52, 34, v54
	v_mad_u64_u32 v[36:37], null, s0, v50, 0
	v_lshlrev_b64 v[46:47], 4, v[46:47]
	v_mad_u64_u32 v[42:43], null, s0, v52, 0
	v_mov_b32_e32 v34, v37
	v_add_co_u32 v46, vcc_lo, v55, v46
	v_add_co_ci_u32_e32 v47, vcc_lo, v56, v47, vcc_lo
	v_mov_b32_e32 v35, v43
	global_store_dwordx4 v[46:47], v[28:31], off
	v_mad_u64_u32 v[50:51], null, s1, v50, v[34:35]
	v_mad_u64_u32 v[51:52], null, s1, v52, v[35:36]
	v_mad_u64_u32 v[52:53], null, s0, v57, 0
	s_waitcnt vmcnt(0)
	v_fma_f64 v[34:35], v[40:41], v[32:33], -v[38:39]
	v_fma_f64 v[32:33], v[40:41], v[44:45], v[48:49]
	v_mov_b32_e32 v37, v50
	v_add_nc_u32_e32 v44, 0x44, v54
	v_mov_b32_e32 v43, v51
	v_add_nc_u32_e32 v45, 0x55, v54
	v_mov_b32_e32 v28, v53
	v_lshlrev_b64 v[29:30], 4, v[36:37]
	v_mad_u64_u32 v[39:40], null, s0, v44, 0
	v_mad_u64_u32 v[36:37], null, s1, v57, v[28:29]
	v_lshlrev_b64 v[37:38], 4, v[42:43]
	v_add_co_u32 v28, vcc_lo, v55, v29
	v_add_co_ci_u32_e32 v29, vcc_lo, v56, v30, vcc_lo
	v_mad_u64_u32 v[41:42], null, s0, v45, 0
	v_mov_b32_e32 v53, v36
	v_add_co_u32 v30, vcc_lo, v55, v37
	v_add_co_ci_u32_e32 v31, vcc_lo, v56, v38, vcc_lo
	v_lshlrev_b64 v[37:38], 4, v[52:53]
	v_mov_b32_e32 v36, v40
	global_store_dwordx4 v[28:29], v[32:35], off
	global_store_dwordx4 v[30:31], v[24:27], off
	v_mov_b32_e32 v26, v42
                                        ; kill: def $vgpr27 killed $sgpr0 killed $exec
	v_add_nc_u32_e32 v28, 0x66, v54
	v_add_nc_u32_e32 v29, 0x77, v54
	v_mad_u64_u32 v[43:44], null, s1, v44, v[36:37]
	v_add_co_u32 v24, vcc_lo, v55, v37
	v_add_co_ci_u32_e32 v25, vcc_lo, v56, v38, vcc_lo
	v_mad_u64_u32 v[26:27], null, s1, v45, v[26:27]
	v_mov_b32_e32 v40, v43
	global_store_dwordx4 v[24:25], v[20:23], off
	v_mad_u64_u32 v[20:21], null, s0, v28, 0
	v_lshlrev_b64 v[22:23], 4, v[39:40]
	v_mov_b32_e32 v42, v26
	v_add_co_u32 v22, vcc_lo, v55, v22
	v_lshlrev_b64 v[24:25], 4, v[41:42]
	v_add_co_ci_u32_e32 v23, vcc_lo, v56, v23, vcc_lo
	v_mad_u64_u32 v[26:27], null, s1, v28, v[21:22]
	v_mad_u64_u32 v[27:28], null, s0, v29, 0
	v_add_co_u32 v24, vcc_lo, v55, v24
	v_add_co_ci_u32_e32 v25, vcc_lo, v56, v25, vcc_lo
	global_store_dwordx4 v[22:23], v[16:19], off
	v_mov_b32_e32 v21, v26
	v_mov_b32_e32 v16, v28
	v_add_nc_u32_e32 v19, 0x88, v54
	global_store_dwordx4 v[24:25], v[12:15], off
	v_lshlrev_b64 v[12:13], 4, v[20:21]
	v_mad_u64_u32 v[14:15], null, s1, v29, v[16:17]
	v_mad_u64_u32 v[15:16], null, s0, v19, 0
	v_add_nc_u32_e32 v20, 0x99, v54
	v_add_co_u32 v12, vcc_lo, v55, v12
	v_add_co_ci_u32_e32 v13, vcc_lo, v56, v13, vcc_lo
	v_mov_b32_e32 v28, v14
	v_mad_u64_u32 v[17:18], null, s0, v20, 0
	v_mov_b32_e32 v14, v16
	v_add_nc_u32_e32 v21, 0xaa, v54
	global_store_dwordx4 v[12:13], v[8:11], off
	v_lshlrev_b64 v[8:9], 4, v[27:28]
	v_mad_u64_u32 v[10:11], null, s1, v19, v[14:15]
	v_mad_u64_u32 v[12:13], null, s0, v21, 0
	v_mov_b32_e32 v11, v18
	v_add_co_u32 v8, vcc_lo, v55, v8
	v_add_co_ci_u32_e32 v9, vcc_lo, v56, v9, vcc_lo
	v_mov_b32_e32 v16, v10
	v_mad_u64_u32 v[10:11], null, s1, v20, v[11:12]
	v_mov_b32_e32 v11, v13
	global_store_dwordx4 v[8:9], v[4:7], off
	v_lshlrev_b64 v[4:5], 4, v[15:16]
	v_add_nc_u32_e32 v14, 0xbb, v54
	v_mad_u64_u32 v[6:7], null, s1, v21, v[11:12]
	v_mov_b32_e32 v18, v10
	v_add_co_u32 v4, vcc_lo, v55, v4
	v_add_co_ci_u32_e32 v5, vcc_lo, v56, v5, vcc_lo
	v_lshlrev_b64 v[8:9], 4, v[17:18]
	v_mov_b32_e32 v13, v6
	v_mad_u64_u32 v[19:20], null, s0, v14, 0
	global_store_dwordx4 v[4:5], v[0:3], off
	v_add_nc_u32_e32 v10, 0xcc, v54
	v_lshlrev_b64 v[0:1], 4, v[12:13]
	v_add_co_u32 v2, vcc_lo, v55, v8
	v_add_co_ci_u32_e32 v3, vcc_lo, v56, v9, vcc_lo
	v_mov_b32_e32 v7, v20
	v_add_co_u32 v0, vcc_lo, v55, v0
	v_add_co_ci_u32_e32 v1, vcc_lo, v56, v1, vcc_lo
	global_store_dwordx4 v[2:3], v[80:83], off
	global_store_dwordx4 v[0:1], v[128:131], off
	v_mad_u64_u32 v[6:7], null, s1, v14, v[7:8]
	s_clause 0x3
	buffer_load_dword v13, off, s[68:71], 0 offset:112
	buffer_load_dword v14, off, s[68:71], 0 offset:116
	;; [unrolled: 1-line block ×4, first 2 shown]
	v_mad_u64_u32 v[4:5], null, s0, v10, 0
	v_add_nc_u32_e32 v11, 0xdd, v54
	v_add_nc_u32_e32 v12, 0xee, v54
	v_mov_b32_e32 v20, v6
	v_mov_b32_e32 v0, v5
	v_lshlrev_b64 v[6:7], 4, v[19:20]
	v_add_co_u32 v1, vcc_lo, v55, v6
	v_add_co_ci_u32_e32 v2, vcc_lo, v56, v7, vcc_lo
	v_mad_u64_u32 v[5:6], null, s1, v10, v[0:1]
	v_mad_u64_u32 v[6:7], null, s0, v11, 0
	v_lshlrev_b64 v[3:4], 4, v[4:5]
	v_add_nc_u32_e32 v5, 0x110, v54
	s_waitcnt vmcnt(0)
	global_store_dwordx4 v[1:2], v[13:16], off
	v_add_nc_u32_e32 v13, 0xff, v54
	v_mad_u64_u32 v[0:1], null, s0, v12, 0
	v_mov_b32_e32 v2, v7
	v_mad_u64_u32 v[8:9], null, s0, v13, 0
	v_mad_u64_u32 v[10:11], null, s1, v11, v[2:3]
	;; [unrolled: 1-line block ×3, first 2 shown]
	v_add_co_u32 v3, vcc_lo, v55, v3
	v_mov_b32_e32 v2, v9
	v_mad_u64_u32 v[11:12], null, s0, v5, 0
	v_mov_b32_e32 v7, v10
	v_add_co_ci_u32_e32 v4, vcc_lo, v56, v4, vcc_lo
	v_mad_u64_u32 v[9:10], null, s1, v13, v[2:3]
	s_clause 0x3
	buffer_load_dword v13, off, s[68:71], 0 offset:72
	buffer_load_dword v14, off, s[68:71], 0 offset:76
	;; [unrolled: 1-line block ×4, first 2 shown]
	v_mov_b32_e32 v2, v12
	v_lshlrev_b64 v[0:1], 4, v[0:1]
	s_waitcnt vmcnt(0)
	global_store_dwordx4 v[3:4], v[13:16], off
	v_lshlrev_b64 v[3:4], 4, v[6:7]
	v_mad_u64_u32 v[5:6], null, s1, v5, v[2:3]
	v_add_co_u32 v2, vcc_lo, v55, v3
	v_add_co_ci_u32_e32 v3, vcc_lo, v56, v4, vcc_lo
	v_lshlrev_b64 v[6:7], 4, v[8:9]
	v_add_co_u32 v0, vcc_lo, v55, v0
	v_mov_b32_e32 v12, v5
	v_add_co_ci_u32_e32 v1, vcc_lo, v56, v1, vcc_lo
	v_add_co_u32 v6, vcc_lo, v55, v6
	v_lshlrev_b64 v[4:5], 4, v[11:12]
	s_clause 0x3
	buffer_load_dword v8, off, s[68:71], 0 offset:56
	buffer_load_dword v9, off, s[68:71], 0 offset:60
	;; [unrolled: 1-line block ×4, first 2 shown]
	v_add_co_ci_u32_e32 v7, vcc_lo, v56, v7, vcc_lo
	v_add_co_u32 v4, vcc_lo, v55, v4
	v_add_co_ci_u32_e32 v5, vcc_lo, v56, v5, vcc_lo
	s_waitcnt vmcnt(0)
	global_store_dwordx4 v[2:3], v[8:11], off
	s_clause 0x3
	buffer_load_dword v8, off, s[68:71], 0 offset:40
	buffer_load_dword v9, off, s[68:71], 0 offset:44
	buffer_load_dword v10, off, s[68:71], 0 offset:48
	buffer_load_dword v11, off, s[68:71], 0 offset:52
	s_waitcnt vmcnt(0)
	global_store_dwordx4 v[0:1], v[8:11], off
	s_clause 0x3
	buffer_load_dword v0, off, s[68:71], 0 offset:20
	buffer_load_dword v1, off, s[68:71], 0 offset:24
	buffer_load_dword v2, off, s[68:71], 0 offset:28
	buffer_load_dword v3, off, s[68:71], 0 offset:32
	;; [unrolled: 7-line block ×3, first 2 shown]
	s_waitcnt vmcnt(0)
	global_store_dwordx4 v[4:5], v[0:3], off
.LBB0_16:
	s_endpgm
	.section	.rodata,"a",@progbits
	.p2align	6, 0x0
	.amdhsa_kernel fft_rtc_back_len289_factors_17_17_wgs_119_tpt_17_dp_op_CI_CI_sbcc_twdbase8_2step_dirReg
		.amdhsa_group_segment_fixed_size 0
		.amdhsa_private_segment_fixed_size 724
		.amdhsa_kernarg_size 112
		.amdhsa_user_sgpr_count 6
		.amdhsa_user_sgpr_private_segment_buffer 1
		.amdhsa_user_sgpr_dispatch_ptr 0
		.amdhsa_user_sgpr_queue_ptr 0
		.amdhsa_user_sgpr_kernarg_segment_ptr 1
		.amdhsa_user_sgpr_dispatch_id 0
		.amdhsa_user_sgpr_flat_scratch_init 0
		.amdhsa_user_sgpr_private_segment_size 0
		.amdhsa_wavefront_size32 1
		.amdhsa_uses_dynamic_stack 0
		.amdhsa_system_sgpr_private_segment_wavefront_offset 1
		.amdhsa_system_sgpr_workgroup_id_x 1
		.amdhsa_system_sgpr_workgroup_id_y 0
		.amdhsa_system_sgpr_workgroup_id_z 0
		.amdhsa_system_sgpr_workgroup_info 0
		.amdhsa_system_vgpr_workitem_id 0
		.amdhsa_next_free_vgpr 256
		.amdhsa_next_free_sgpr 72
		.amdhsa_reserve_vcc 1
		.amdhsa_reserve_flat_scratch 0
		.amdhsa_float_round_mode_32 0
		.amdhsa_float_round_mode_16_64 0
		.amdhsa_float_denorm_mode_32 3
		.amdhsa_float_denorm_mode_16_64 3
		.amdhsa_dx10_clamp 1
		.amdhsa_ieee_mode 1
		.amdhsa_fp16_overflow 0
		.amdhsa_workgroup_processor_mode 1
		.amdhsa_memory_ordered 1
		.amdhsa_forward_progress 0
		.amdhsa_shared_vgpr_count 0
		.amdhsa_exception_fp_ieee_invalid_op 0
		.amdhsa_exception_fp_denorm_src 0
		.amdhsa_exception_fp_ieee_div_zero 0
		.amdhsa_exception_fp_ieee_overflow 0
		.amdhsa_exception_fp_ieee_underflow 0
		.amdhsa_exception_fp_ieee_inexact 0
		.amdhsa_exception_int_div_zero 0
	.end_amdhsa_kernel
	.text
.Lfunc_end0:
	.size	fft_rtc_back_len289_factors_17_17_wgs_119_tpt_17_dp_op_CI_CI_sbcc_twdbase8_2step_dirReg, .Lfunc_end0-fft_rtc_back_len289_factors_17_17_wgs_119_tpt_17_dp_op_CI_CI_sbcc_twdbase8_2step_dirReg
                                        ; -- End function
	.section	.AMDGPU.csdata,"",@progbits
; Kernel info:
; codeLenInByte = 22432
; NumSgprs: 74
; NumVgprs: 256
; ScratchSize: 724
; MemoryBound: 1
; FloatMode: 240
; IeeeMode: 1
; LDSByteSize: 0 bytes/workgroup (compile time only)
; SGPRBlocks: 9
; VGPRBlocks: 31
; NumSGPRsForWavesPerEU: 74
; NumVGPRsForWavesPerEU: 256
; Occupancy: 4
; WaveLimiterHint : 1
; COMPUTE_PGM_RSRC2:SCRATCH_EN: 1
; COMPUTE_PGM_RSRC2:USER_SGPR: 6
; COMPUTE_PGM_RSRC2:TRAP_HANDLER: 0
; COMPUTE_PGM_RSRC2:TGID_X_EN: 1
; COMPUTE_PGM_RSRC2:TGID_Y_EN: 0
; COMPUTE_PGM_RSRC2:TGID_Z_EN: 0
; COMPUTE_PGM_RSRC2:TIDIG_COMP_CNT: 0
	.text
	.p2alignl 6, 3214868480
	.fill 48, 4, 3214868480
	.type	__hip_cuid_bf1945d6e290960d,@object ; @__hip_cuid_bf1945d6e290960d
	.section	.bss,"aw",@nobits
	.globl	__hip_cuid_bf1945d6e290960d
__hip_cuid_bf1945d6e290960d:
	.byte	0                               ; 0x0
	.size	__hip_cuid_bf1945d6e290960d, 1

	.ident	"AMD clang version 19.0.0git (https://github.com/RadeonOpenCompute/llvm-project roc-6.4.0 25133 c7fe45cf4b819c5991fe208aaa96edf142730f1d)"
	.section	".note.GNU-stack","",@progbits
	.addrsig
	.addrsig_sym __hip_cuid_bf1945d6e290960d
	.amdgpu_metadata
---
amdhsa.kernels:
  - .args:
      - .actual_access:  read_only
        .address_space:  global
        .offset:         0
        .size:           8
        .value_kind:     global_buffer
      - .address_space:  global
        .offset:         8
        .size:           8
        .value_kind:     global_buffer
      - .offset:         16
        .size:           8
        .value_kind:     by_value
      - .actual_access:  read_only
        .address_space:  global
        .offset:         24
        .size:           8
        .value_kind:     global_buffer
      - .actual_access:  read_only
        .address_space:  global
        .offset:         32
        .size:           8
        .value_kind:     global_buffer
      - .actual_access:  read_only
        .address_space:  global
        .offset:         40
        .size:           8
        .value_kind:     global_buffer
      - .offset:         48
        .size:           8
        .value_kind:     by_value
      - .actual_access:  read_only
        .address_space:  global
        .offset:         56
        .size:           8
        .value_kind:     global_buffer
      - .actual_access:  read_only
        .address_space:  global
        .offset:         64
        .size:           8
        .value_kind:     global_buffer
      - .offset:         72
        .size:           4
        .value_kind:     by_value
      - .actual_access:  read_only
        .address_space:  global
        .offset:         80
        .size:           8
        .value_kind:     global_buffer
      - .actual_access:  read_only
        .address_space:  global
        .offset:         88
        .size:           8
        .value_kind:     global_buffer
      - .actual_access:  read_only
        .address_space:  global
        .offset:         96
        .size:           8
        .value_kind:     global_buffer
      - .actual_access:  write_only
        .address_space:  global
        .offset:         104
        .size:           8
        .value_kind:     global_buffer
    .group_segment_fixed_size: 0
    .kernarg_segment_align: 8
    .kernarg_segment_size: 112
    .language:       OpenCL C
    .language_version:
      - 2
      - 0
    .max_flat_workgroup_size: 119
    .name:           fft_rtc_back_len289_factors_17_17_wgs_119_tpt_17_dp_op_CI_CI_sbcc_twdbase8_2step_dirReg
    .private_segment_fixed_size: 724
    .sgpr_count:     74
    .sgpr_spill_count: 0
    .symbol:         fft_rtc_back_len289_factors_17_17_wgs_119_tpt_17_dp_op_CI_CI_sbcc_twdbase8_2step_dirReg.kd
    .uniform_work_group_size: 1
    .uses_dynamic_stack: false
    .vgpr_count:     256
    .vgpr_spill_count: 184
    .wavefront_size: 32
    .workgroup_processor_mode: 1
amdhsa.target:   amdgcn-amd-amdhsa--gfx1030
amdhsa.version:
  - 1
  - 2
...

	.end_amdgpu_metadata
